;; amdgpu-corpus repo=zjin-lcf/HeCBench kind=compiled arch=gfx942 opt=O3
	.text
	.amdgcn_target "amdgcn-amd-amdhsa--gfx942"
	.amdhsa_code_object_version 6
	.section	.text._Z6kalmanILi8EEvPKdiS1_S1_S1_S1_S1_bS1_iPdS2_S2_iiS2_bS2_,"axG",@progbits,_Z6kalmanILi8EEvPKdiS1_S1_S1_S1_S1_bS1_iPdS2_S2_iiS2_bS2_,comdat
	.protected	_Z6kalmanILi8EEvPKdiS1_S1_S1_S1_S1_bS1_iPdS2_S2_iiS2_bS2_ ; -- Begin function _Z6kalmanILi8EEvPKdiS1_S1_S1_S1_S1_bS1_iPdS2_S2_iiS2_bS2_
	.globl	_Z6kalmanILi8EEvPKdiS1_S1_S1_S1_S1_bS1_iPdS2_S2_iiS2_bS2_
	.p2align	8
	.type	_Z6kalmanILi8EEvPKdiS1_S1_S1_S1_S1_bS1_iPdS2_S2_iiS2_bS2_,@function
_Z6kalmanILi8EEvPKdiS1_S1_S1_S1_S1_bS1_iPdS2_S2_iiS2_bS2_: ; @_Z6kalmanILi8EEvPKdiS1_S1_S1_S1_S1_bS1_iPdS2_S2_iiS2_bS2_
; %bb.0:
	s_load_dword s3, s[0:1], 0x94
	s_load_dword s4, s[0:1], 0x48
	s_waitcnt lgkmcnt(0)
	s_and_b32 s3, s3, 0xffff
	s_mul_i32 s2, s2, s3
	v_add_u32_e32 v10, s2, v0
	v_cmp_gt_i32_e32 vcc, s4, v10
	s_and_saveexec_b64 s[2:3], vcc
	s_cbranch_execz .LBB0_52
; %bb.1:
	s_load_dwordx8 s[20:27], s[0:1], 0x10
	s_load_dwordx2 s[2:3], s[0:1], 0x30
	s_load_dwordx2 s[28:29], s[0:1], 0x68
	v_lshlrev_b32_e32 v0, 6, v10
	v_ashrrev_i32_e32 v1, 31, v0
	v_lshlrev_b64 v[0:1], 3, v[0:1]
	s_waitcnt lgkmcnt(0)
	v_lshl_add_u64 v[4:5], s[24:25], 0, v[0:1]
	global_load_dwordx4 v[6:9], v[4:5], off offset:48
	v_lshl_add_u64 v[2:3], s[20:21], 0, v[0:1]
	v_lshl_add_u64 v[0:1], s[26:27], 0, v[0:1]
	s_mov_b32 s4, 0
	v_lshlrev_b32_e32 v18, 3, v10
	s_mov_b32 s5, s4
	v_mov_b32_e32 v30, v10
	s_cmp_gt_i32 s28, 0
	v_ashrrev_i32_e32 v19, 31, v18
	s_mov_b32 s6, s4
	s_mov_b32 s7, s4
	;; [unrolled: 1-line block ×14, first 2 shown]
	s_cselect_b64 s[20:21], -1, 0
	s_cmp_lt_i32 s28, 1
	s_waitcnt vmcnt(0)
	scratch_store_dwordx4 off, v[6:9], off offset:2040 ; 16-byte Folded Spill
	global_load_dwordx4 v[6:9], v[4:5], off offset:32
	s_waitcnt vmcnt(0)
	scratch_store_dwordx4 off, v[6:9], off offset:2056 ; 16-byte Folded Spill
	global_load_dwordx4 v[6:9], v[4:5], off offset:16
	s_waitcnt vmcnt(0)
	scratch_store_dwordx4 off, v[6:9], off offset:2072 ; 16-byte Folded Spill
	global_load_dwordx4 v[6:9], v[4:5], off
	s_waitcnt vmcnt(0)
	scratch_store_dwordx4 off, v[6:9], off offset:2088 ; 16-byte Folded Spill
	global_load_dwordx4 v[6:9], v[4:5], off offset:112
	s_waitcnt vmcnt(0)
	scratch_store_dwordx4 off, v[6:9], off offset:2104 ; 16-byte Folded Spill
	global_load_dwordx4 v[6:9], v[4:5], off offset:96
	;; [unrolled: 3-line block ×31, first 2 shown]
	s_waitcnt vmcnt(0)
	scratch_store_dwordx4 off, v[4:7], off offset:224 ; 16-byte Folded Spill
	global_load_dwordx4 v[4:7], v[2:3], off
	s_waitcnt vmcnt(0)
	scratch_store_dwordx4 off, v[4:7], off offset:480 ; 16-byte Folded Spill
	global_load_dwordx4 v[112:115], v[2:3], off offset:112
	s_nop 0
	global_load_dwordx4 v[4:7], v[2:3], off offset:96
	s_waitcnt vmcnt(0)
	scratch_store_dwordx4 off, v[4:7], off offset:320 ; 16-byte Folded Spill
	global_load_dwordx4 v[4:7], v[2:3], off offset:80
	s_waitcnt vmcnt(0)
	scratch_store_dwordx4 off, v[4:7], off offset:192 ; 16-byte Folded Spill
	;; [unrolled: 3-line block ×5, first 2 shown]
	global_load_dwordx4 v[22:25], v[2:3], off offset:144
	s_nop 0
	global_load_dwordx4 v[4:7], v[2:3], off offset:128
	s_waitcnt vmcnt(0)
	scratch_store_dwordx4 off, v[4:7], off offset:112 ; 16-byte Folded Spill
	global_load_dwordx4 v[90:93], v[2:3], off offset:240
	global_load_dwordx4 v[70:73], v[2:3], off offset:224
	;; [unrolled: 1-line block ×3, first 2 shown]
	s_nop 0
	global_load_dwordx4 v[4:7], v[2:3], off offset:192
	s_waitcnt vmcnt(0)
	scratch_store_dwordx4 off, v[4:7], off offset:368 ; 16-byte Folded Spill
	global_load_dwordx4 v[4:7], v[2:3], off offset:304
	s_waitcnt vmcnt(0)
	scratch_store_dwordx4 off, v[4:7], off offset:128 ; 16-byte Folded Spill
	;; [unrolled: 3-line block ×8, first 2 shown]
	global_load_dwordx4 v[106:109], v[2:3], off offset:320
	global_load_dwordx4 v[86:89], v[2:3], off offset:432
	;; [unrolled: 1-line block ×3, first 2 shown]
	s_nop 0
	global_load_dwordx4 v[4:7], v[2:3], off offset:400
	s_waitcnt vmcnt(0)
	scratch_store_dwordx4 off, v[4:7], off offset:448 ; 16-byte Folded Spill
	global_load_dwordx4 v[4:7], v[2:3], off offset:384
	s_waitcnt vmcnt(0)
	scratch_store_dwordx4 off, v[4:7], off offset:160 ; 16-byte Folded Spill
	;; [unrolled: 3-line block ×9, first 2 shown]
	global_load_dwordx4 v[2:5], v[0:1], off
	s_waitcnt vmcnt(0)
	scratch_store_dwordx4 off, v[2:5], off offset:1008 ; 16-byte Folded Spill
	global_load_dwordx4 v[2:5], v[0:1], off offset:112
	s_waitcnt vmcnt(0)
	scratch_store_dwordx4 off, v[2:5], off offset:576 ; 16-byte Folded Spill
	global_load_dwordx4 v[2:5], v[0:1], off offset:96
	s_waitcnt vmcnt(0)
	scratch_store_dwordx4 off, v[2:5], off offset:688 ; 16-byte Folded Spill
	global_load_dwordx4 v[2:5], v[0:1], off offset:80
	s_waitcnt vmcnt(0)
	scratch_store_dwordx4 off, v[2:5], off offset:704 ; 16-byte Folded Spill
	global_load_dwordx4 v[2:5], v[0:1], off offset:64
	s_waitcnt vmcnt(0)
	scratch_store_dwordx4 off, v[2:5], off offset:816 ; 16-byte Folded Spill
	global_load_dwordx4 v[102:105], v[0:1], off offset:176
	global_load_dwordx4 v[26:29], v[0:1], off offset:160
	s_nop 0
	global_load_dwordx4 v[2:5], v[0:1], off offset:144
	s_waitcnt vmcnt(0)
	scratch_store_dwordx4 off, v[2:5], off offset:560 ; 16-byte Folded Spill
	global_load_dwordx4 v[2:5], v[0:1], off offset:128
	s_waitcnt vmcnt(0)
	scratch_store_dwordx4 off, v[2:5], off offset:672 ; 16-byte Folded Spill
	global_load_dwordx4 v[62:65], v[0:1], off offset:240
	global_load_dwordx4 v[66:69], v[0:1], off offset:224
	;; [unrolled: 1-line block ×7, first 2 shown]
	s_waitcnt vmcnt(0)
	scratch_store_dwordx4 off, v[2:5], off offset:592 ; 16-byte Folded Spill
	global_load_dwordx4 v[2:5], v[0:1], off offset:256
	s_waitcnt vmcnt(0)
	scratch_store_dwordx4 off, v[2:5], off offset:528 ; 16-byte Folded Spill
	global_load_dwordx4 v[2:5], v[0:1], off offset:368
	;; [unrolled: 3-line block ×3, first 2 shown]
	global_load_dwordx4 v[36:39], v[0:1], off offset:336
	global_load_dwordx4 v[46:49], v[0:1], off offset:320
	s_nop 0
	global_load_dwordx4 v[2:5], v[0:1], off offset:432
	s_waitcnt vmcnt(0)
	scratch_store_dwordx4 off, v[2:5], off offset:608 ; 16-byte Folded Spill
	global_load_dwordx4 v[2:5], v[0:1], off offset:416
	s_waitcnt vmcnt(0)
	scratch_store_dwordx4 off, v[2:5], off offset:624 ; 16-byte Folded Spill
	;; [unrolled: 3-line block ×4, first 2 shown]
	global_load_dwordx4 v[124:127], v[0:1], off offset:496
	global_load_dwordx4 v[74:77], v[0:1], off offset:480
	s_nop 0
	global_load_dwordx4 v[2:5], v[0:1], off offset:464
	s_waitcnt vmcnt(0)
	scratch_store_dwordx4 off, v[2:5], off offset:720 ; 16-byte Folded Spill
	global_load_dwordx4 v[0:3], v[0:1], off offset:448
	s_waitcnt vmcnt(0)
	scratch_store_dwordx4 off, v[0:3], off offset:496 ; 16-byte Folded Spill
	s_nop 1
	v_mov_b64_e32 v[2:3], s[4:5]
	v_lshl_add_u64 v[0:1], v[18:19], 3, s[22:23]
	v_mov_b64_e32 v[4:5], s[6:7]
	v_mov_b64_e32 v[6:7], s[8:9]
	;; [unrolled: 1-line block ×7, first 2 shown]
	scratch_store_dwordx4 off, v[2:5], off offset:1280 ; 16-byte Folded Spill
	s_nop 0
	scratch_store_dwordx4 off, v[6:9], off offset:1296 ; 16-byte Folded Spill
	scratch_store_dwordx4 off, v[10:13], off offset:1312 ; 16-byte Folded Spill
	;; [unrolled: 1-line block ×3, first 2 shown]
	s_cbranch_scc1 .LBB0_3
; %bb.2:
	global_load_dwordx2 v[2:3], v[0:1], off
	v_mov_b32_e32 v4, 0
	v_mov_b32_e32 v5, v4
	;; [unrolled: 1-line block ×14, first 2 shown]
	s_waitcnt vmcnt(0)
	scratch_store_dwordx4 off, v[2:5], off offset:1280 ; 16-byte Folded Spill
	s_nop 0
	scratch_store_dwordx4 off, v[6:9], off offset:1296 ; 16-byte Folded Spill
	scratch_store_dwordx4 off, v[10:13], off offset:1312 ; 16-byte Folded Spill
	;; [unrolled: 1-line block ×3, first 2 shown]
.LBB0_3:
	v_lshl_add_u64 v[18:19], v[18:19], 3, s[2:3]
	global_load_dwordx2 v[54:55], v[18:19], off
	v_cndmask_b32_e64 v20, 0, 1, s[20:21]
	v_cmp_ne_u32_e64 s[2:3], 1, v20
	s_andn2_b64 vcc, exec, s[20:21]
	scratch_store_dwordx4 off, v[32:35], off offset:832 ; 16-byte Folded Spill
	scratch_store_dwordx4 off, v[36:39], off offset:848 ; 16-byte Folded Spill
	;; [unrolled: 1-line block ×4, first 2 shown]
	s_cbranch_vccnz .LBB0_5
; %bb.4:
	scratch_load_dwordx4 v[2:5], off, off offset:1280 ; 16-byte Folded Reload
	scratch_load_dwordx4 v[6:9], off, off offset:1296 ; 16-byte Folded Reload
	;; [unrolled: 1-line block ×4, first 2 shown]
	global_load_dwordx2 v[4:5], v[0:1], off offset:8
	s_waitcnt vmcnt(0)
	scratch_store_dwordx4 off, v[2:5], off offset:1280 ; 16-byte Folded Spill
	s_nop 0
	scratch_store_dwordx4 off, v[6:9], off offset:1296 ; 16-byte Folded Spill
	scratch_store_dwordx4 off, v[10:13], off offset:1312 ; 16-byte Folded Spill
	;; [unrolled: 1-line block ×3, first 2 shown]
.LBB0_5:
	global_load_dwordx2 v[56:57], v[18:19], off offset:8
	v_mov_b64_e32 v[44:45], v[42:43]
	v_mov_b64_e32 v[34:35], v[106:107]
	;; [unrolled: 1-line block ×3, first 2 shown]
	s_and_b64 vcc, exec, s[2:3]
	v_mov_b64_e32 v[42:43], v[40:41]
	v_mov_b64_e32 v[36:37], v[108:109]
	;; [unrolled: 1-line block ×3, first 2 shown]
	s_cbranch_vccnz .LBB0_7
; %bb.6:
	scratch_load_dwordx4 v[2:5], off, off offset:1280 ; 16-byte Folded Reload
	scratch_load_dwordx4 v[6:9], off, off offset:1296 ; 16-byte Folded Reload
	;; [unrolled: 1-line block ×4, first 2 shown]
	global_load_dwordx2 v[6:7], v[0:1], off offset:16
	s_waitcnt vmcnt(0)
	scratch_store_dwordx4 off, v[2:5], off offset:1280 ; 16-byte Folded Spill
	s_nop 0
	scratch_store_dwordx4 off, v[6:9], off offset:1296 ; 16-byte Folded Spill
	scratch_store_dwordx4 off, v[10:13], off offset:1312 ; 16-byte Folded Spill
	;; [unrolled: 1-line block ×3, first 2 shown]
.LBB0_7:
	v_mov_b64_e32 v[46:47], v[58:59]
	v_mov_b64_e32 v[48:49], v[60:61]
	global_load_dwordx2 v[58:59], v[18:19], off offset:16
	v_mov_b64_e32 v[40:41], v[24:25]
	v_mov_b64_e32 v[38:39], v[22:23]
	;; [unrolled: 1-line block ×3, first 2 shown]
	s_and_b64 vcc, exec, s[2:3]
	v_mov_b64_e32 v[24:25], v[88:89]
	s_cbranch_vccnz .LBB0_9
; %bb.8:
	scratch_load_dwordx4 v[2:5], off, off offset:1280 ; 16-byte Folded Reload
	scratch_load_dwordx4 v[6:9], off, off offset:1296 ; 16-byte Folded Reload
	;; [unrolled: 1-line block ×4, first 2 shown]
	global_load_dwordx2 v[8:9], v[0:1], off offset:24
	s_waitcnt vmcnt(0)
	scratch_store_dwordx4 off, v[2:5], off offset:1280 ; 16-byte Folded Spill
	s_nop 0
	scratch_store_dwordx4 off, v[6:9], off offset:1296 ; 16-byte Folded Spill
	scratch_store_dwordx4 off, v[10:13], off offset:1312 ; 16-byte Folded Spill
	;; [unrolled: 1-line block ×3, first 2 shown]
.LBB0_9:
	global_load_dwordx2 v[60:61], v[18:19], off offset:24
	v_mov_b64_e32 v[88:89], v[44:45]
	v_mov_b64_e32 v[86:87], v[42:43]
	s_and_b64 vcc, exec, s[2:3]
	scratch_store_dwordx4 off, v[62:65], off offset:864 ; 16-byte Folded Spill
	s_cbranch_vccnz .LBB0_11
; %bb.10:
	scratch_load_dwordx4 v[2:5], off, off offset:1280 ; 16-byte Folded Reload
	scratch_load_dwordx4 v[6:9], off, off offset:1296 ; 16-byte Folded Reload
	;; [unrolled: 1-line block ×4, first 2 shown]
	global_load_dwordx2 v[10:11], v[0:1], off offset:32
	s_waitcnt vmcnt(0)
	scratch_store_dwordx4 off, v[2:5], off offset:1280 ; 16-byte Folded Spill
	s_nop 0
	scratch_store_dwordx4 off, v[6:9], off offset:1296 ; 16-byte Folded Spill
	scratch_store_dwordx4 off, v[10:13], off offset:1312 ; 16-byte Folded Spill
	;; [unrolled: 1-line block ×3, first 2 shown]
.LBB0_11:
	global_load_dwordx2 v[62:63], v[18:19], off offset:32
	s_and_b64 vcc, exec, s[2:3]
	s_cbranch_vccnz .LBB0_13
; %bb.12:
	scratch_load_dwordx4 v[2:5], off, off offset:1280 ; 16-byte Folded Reload
	scratch_load_dwordx4 v[6:9], off, off offset:1296 ; 16-byte Folded Reload
	;; [unrolled: 1-line block ×4, first 2 shown]
	global_load_dwordx2 v[12:13], v[0:1], off offset:40
	s_waitcnt vmcnt(0)
	scratch_store_dwordx4 off, v[2:5], off offset:1280 ; 16-byte Folded Spill
	s_nop 0
	scratch_store_dwordx4 off, v[6:9], off offset:1296 ; 16-byte Folded Spill
	scratch_store_dwordx4 off, v[10:13], off offset:1312 ; 16-byte Folded Spill
	;; [unrolled: 1-line block ×3, first 2 shown]
.LBB0_13:
	global_load_dwordx2 v[64:65], v[18:19], off offset:40
	s_and_b64 vcc, exec, s[2:3]
	scratch_store_dwordx4 off, v[66:69], off offset:752 ; 16-byte Folded Spill
	s_cbranch_vccnz .LBB0_15
; %bb.14:
	scratch_load_dwordx4 v[2:5], off, off offset:1280 ; 16-byte Folded Reload
	scratch_load_dwordx4 v[6:9], off, off offset:1296 ; 16-byte Folded Reload
	;; [unrolled: 1-line block ×4, first 2 shown]
	global_load_dwordx2 v[14:15], v[0:1], off offset:48
	s_waitcnt vmcnt(0)
	scratch_store_dwordx4 off, v[2:5], off offset:1280 ; 16-byte Folded Spill
	s_nop 0
	scratch_store_dwordx4 off, v[6:9], off offset:1296 ; 16-byte Folded Spill
	scratch_store_dwordx4 off, v[10:13], off offset:1312 ; 16-byte Folded Spill
	;; [unrolled: 1-line block ×3, first 2 shown]
.LBB0_15:
	global_load_dwordx2 v[66:67], v[18:19], off offset:48
	s_and_b64 vcc, exec, s[2:3]
	s_cbranch_vccnz .LBB0_17
; %bb.16:
	scratch_load_dwordx4 v[2:5], off, off offset:1280 ; 16-byte Folded Reload
	scratch_load_dwordx4 v[6:9], off, off offset:1296 ; 16-byte Folded Reload
	;; [unrolled: 1-line block ×4, first 2 shown]
	global_load_dwordx2 v[16:17], v[0:1], off offset:56
	s_waitcnt vmcnt(0)
	scratch_store_dwordx4 off, v[2:5], off offset:1280 ; 16-byte Folded Spill
	s_nop 0
	scratch_store_dwordx4 off, v[6:9], off offset:1296 ; 16-byte Folded Spill
	scratch_store_dwordx4 off, v[10:13], off offset:1312 ; 16-byte Folded Spill
	;; [unrolled: 1-line block ×3, first 2 shown]
.LBB0_17:
	v_mov_b64_e32 v[6:7], v[26:27]
	scratch_load_dwordx4 v[10:13], off, off offset:272 ; 16-byte Folded Reload
	global_load_dwordx2 v[68:69], v[18:19], off offset:56
	v_mov_b64_e32 v[8:9], v[28:29]
	scratch_load_dwordx4 v[26:29], off, off offset:304 ; 16-byte Folded Reload
	s_load_dword s2, s[0:1], 0x38
	v_mov_b32_e32 v2, v30
	v_ashrrev_i32_e32 v3, 31, v2
	v_mov_b64_e32 v[4:5], 0
	scratch_store_dwordx2 off, v[4:5], off offset:1688 ; 8-byte Folded Spill
	s_waitcnt lgkmcnt(0)
	s_bitcmp0_b32 s2, 0
	s_cbranch_scc1 .LBB0_19
; %bb.18:
	s_load_dwordx2 s[2:3], s[0:1], 0x40
	s_waitcnt lgkmcnt(0)
	v_lshl_add_u64 v[0:1], v[2:3], 3, s[2:3]
	global_load_dwordx2 v[0:1], v[0:1], off
	s_waitcnt vmcnt(0)
	scratch_store_dwordx2 off, v[0:1], off offset:1688 ; 8-byte Folded Spill
.LBB0_19:
	scratch_store_dwordx4 off, v[102:105], off offset:784 ; 16-byte Folded Spill
	scratch_store_dwordx4 off, v[98:101], off offset:768 ; 16-byte Folded Spill
	;; [unrolled: 1-line block ×3, first 2 shown]
	s_load_dword s18, s[0:1], 0x8
	s_load_dwordx2 s[8:9], s[0:1], 0x60
	scratch_store_dwordx4 off, v[112:115], off offset:240 ; 16-byte Folded Spill
	scratch_store_dwordx4 off, v[38:41], off offset:208 ; 16-byte Folded Spill
	;; [unrolled: 1-line block ×4, first 2 shown]
	scratch_store_dwordx4 off, v[46:49], off ; 16-byte Folded Spill
	scratch_store_dwordx4 off, v[34:37], off offset:64 ; 16-byte Folded Spill
	scratch_store_dwordx4 off, v[22:25], off offset:544 ; 16-byte Folded Spill
	;; [unrolled: 1-line block ×3, first 2 shown]
	scratch_load_dwordx4 v[78:81], off, off offset:400 ; 16-byte Folded Reload
	s_waitcnt lgkmcnt(0)
	s_cmp_lt_i32 s18, 1
	s_cbranch_scc1 .LBB0_37
; %bb.20:
	s_load_dwordx2 s[2:3], s[0:1], 0x0
	s_load_dwordx4 s[4:7], s[0:1], 0x50
	v_mul_lo_u32 v0, v2, s18
	v_ashrrev_i32_e32 v1, 31, v0
	v_lshlrev_b64 v[0:1], 3, v[0:1]
	scratch_store_dwordx2 off, v[2:3], off offset:2616 ; 8-byte Folded Spill
	s_waitcnt lgkmcnt(0)
	v_lshl_add_u64 v[2:3], s[2:3], 0, v[0:1]
	v_lshl_add_u64 v[20:21], s[4:5], 0, v[0:1]
	;; [unrolled: 1-line block ×3, first 2 shown]
	v_mov_b64_e32 v[0:1], 0
	scratch_store_dwordx2 off, v[0:1], off offset:2552 ; 8-byte Folded Spill
	v_mov_b32_e32 v0, 0
	scratch_store_dwordx2 off, v[0:1], off offset:2560 ; 8-byte Folded Spill
	v_mov_b32_e32 v0, 0x6b47b09a
	v_mov_b32_e32 v1, 0x3fc38538
	scratch_store_dwordx2 off, v[0:1], off offset:2568 ; 8-byte Folded Spill
	v_mov_b32_e32 v0, 0xd7f4df2e
	v_mov_b32_e32 v1, 0x3fc7474d
	scratch_store_dwordx2 off, v[0:1], off offset:2576 ; 8-byte Folded Spill
	v_mov_b32_e32 v0, 0x16291751
	v_mov_b32_e32 v1, 0x3fcc71c0
	scratch_store_dwordx2 off, v[0:1], off offset:2584 ; 8-byte Folded Spill
	v_mov_b32_e32 v0, 0x9b27acf1
	v_mov_b32_e32 v1, 0x3fd24924
	scratch_store_dwordx2 off, v[0:1], off offset:2592 ; 8-byte Folded Spill
	v_mov_b32_e32 v0, 0x998ef7b6
	v_mov_b32_e32 v1, 0x3fd99999
	scratch_store_dwordx2 off, v[0:1], off offset:2600 ; 8-byte Folded Spill
	v_mov_b32_e32 v0, 0x55555780
	v_mov_b32_e32 v1, 0x3fe55555
	scratch_store_dwordx2 off, v[0:1], off offset:2608 ; 8-byte Folded Spill
	scratch_load_dwordx4 v[24:27], off, off offset:608 ; 16-byte Folded Reload
	scratch_load_dwordx4 v[70:73], off, off offset:624 ; 16-byte Folded Reload
	;; [unrolled: 1-line block ×7, first 2 shown]
	s_cmp_lg_u32 s28, 0
	s_mov_b32 s6, 0x55555555
	s_mov_b32 s10, 0xbf559e2b
	;; [unrolled: 1-line block ×5, first 2 shown]
	s_cselect_b64 s[4:5], -1, 0
	s_mov_b32 s7, 0x3fe55555
	s_mov_b32 s11, 0x3fc3ab76
	;; [unrolled: 1-line block ×4, first 2 shown]
	s_movk_i32 s20, 0x204
	s_lshl_b32 s21, s28, 1
.LBB0_21:                               ; =>This Inner Loop Header: Depth=1
	scratch_store_dwordx4 off, v[6:9], off offset:800 ; 16-byte Folded Spill
	scratch_store_dwordx2 off, v[2:3], off offset:1696 ; 8-byte Folded Spill
	global_load_dwordx2 v[0:1], v[2:3], off
	scratch_load_dwordx4 v[82:85], off, off offset:560 ; 16-byte Folded Reload
	scratch_load_dwordx4 v[90:93], off, off offset:672 ; 16-byte Folded Reload
	;; [unrolled: 1-line block ×3, first 2 shown]
	v_cndmask_b32_e64 v18, 0, 1, s[4:5]
	v_cmp_ne_u32_e64 s[2:3], 1, v18
	s_andn2_b64 vcc, exec, s[4:5]
	s_cbranch_vccnz .LBB0_35
; %bb.22:                               ;   in Loop: Header=BB0_21 Depth=1
	scratch_load_dwordx4 v[2:5], off, off offset:1280 ; 16-byte Folded Reload
	scratch_load_dwordx4 v[6:9], off, off offset:1296 ; 16-byte Folded Reload
	;; [unrolled: 1-line block ×4, first 2 shown]
	s_waitcnt vmcnt(3)
	v_fma_f64 v[18:19], -v[54:55], v[2:3], v[0:1]
	v_fma_f64 v[18:19], -v[56:57], v[4:5], v[18:19]
	s_waitcnt vmcnt(2)
	v_fma_f64 v[18:19], -v[58:59], v[6:7], v[18:19]
	v_fma_f64 v[18:19], -v[60:61], v[8:9], v[18:19]
	;; [unrolled: 3-line block ×4, first 2 shown]
	s_cbranch_execnz .LBB0_24
.LBB0_23:                               ;   in Loop: Header=BB0_21 Depth=1
	s_waitcnt vmcnt(3)
	v_add_f64 v[2:3], v[0:1], -v[54:55]
.LBB0_24:                               ;   in Loop: Header=BB0_21 Depth=1
	s_and_b64 vcc, exec, s[2:3]
	s_waitcnt vmcnt(7)
	v_mov_b64_e32 v[32:33], v[94:95]
	scratch_store_dwordx2 off, v[2:3], off offset:1792 ; 8-byte Folded Spill
	global_store_dwordx2 v[20:21], v[2:3], off
	s_cbranch_vccnz .LBB0_26
; %bb.25:                               ;   in Loop: Header=BB0_21 Depth=1
	scratch_load_dwordx4 v[2:5], off, off offset:1280 ; 16-byte Folded Reload
	scratch_load_dwordx4 v[6:9], off, off offset:1296 ; 16-byte Folded Reload
	;; [unrolled: 1-line block ×4, first 2 shown]
	v_mov_b64_e32 v[38:39], v[94:95]
	v_mov_b64_e32 v[40:41], v[96:97]
	scratch_load_dwordx4 v[46:49], off, off offset:768 ; 16-byte Folded Reload
	scratch_load_dwordx4 v[42:45], off, off offset:528 ; 16-byte Folded Reload
	s_waitcnt vmcnt(14)
	v_mov_b64_e32 v[52:53], v[36:37]
	v_mov_b64_e32 v[50:51], v[34:35]
	scratch_load_dwordx4 v[34:37], off, off offset:736 ; 16-byte Folded Reload
	v_mov_b64_e32 v[78:79], v[124:125]
	v_mov_b64_e32 v[80:81], v[126:127]
	;; [unrolled: 1-line block ×4, first 2 shown]
	scratch_load_dwordx4 v[74:77], off, off offset:496 ; 16-byte Folded Reload
	s_waitcnt vmcnt(7)
	v_mul_f64 v[0:1], v[2:3], v[94:95]
	scratch_load_dwordx4 v[94:97], off, off offset:816 ; 16-byte Folded Reload
	v_fma_f64 v[32:33], v[2:3], v[0:1], 0
	s_waitcnt vmcnt(0)
	v_mul_f64 v[0:1], v[2:3], v[94:95]
	v_fmac_f64_e32 v[32:33], v[4:5], v[0:1]
	v_mul_f64 v[0:1], v[2:3], v[90:91]
	v_fmac_f64_e32 v[32:33], v[6:7], v[0:1]
	;; [unrolled: 2-line block ×14, first 2 shown]
	v_mul_f64 v[0:1], v[4:5], v[76:77]
	v_mov_b64_e32 v[74:75], v[122:123]
	v_mov_b64_e32 v[76:77], v[124:125]
	;; [unrolled: 1-line block ×4, first 2 shown]
	scratch_load_dwordx4 v[78:81], off, off offset:720 ; 16-byte Folded Reload
	scratch_load_dwordx4 v[94:97], off, off offset:592 ; 16-byte Folded Reload
	;; [unrolled: 1-line block ×6, first 2 shown]
	v_fmac_f64_e32 v[32:33], v[16:17], v[0:1]
	s_waitcnt vmcnt(3)
	v_mul_f64 v[0:1], v[6:7], v[90:91]
	v_fmac_f64_e32 v[32:33], v[2:3], v[0:1]
	s_waitcnt vmcnt(1)
	v_mul_f64 v[0:1], v[6:7], v[42:43]
	v_fmac_f64_e32 v[32:33], v[4:5], v[0:1]
	v_mul_f64 v[0:1], v[6:7], v[82:83]
	v_fmac_f64_e32 v[32:33], v[6:7], v[0:1]
	;; [unrolled: 2-line block ×4, first 2 shown]
	s_waitcnt vmcnt(0)
	v_mul_f64 v[0:1], v[6:7], v[34:35]
	v_fmac_f64_e32 v[32:33], v[12:13], v[0:1]
	v_mul_f64 v[0:1], v[6:7], v[28:29]
	v_fmac_f64_e32 v[32:33], v[14:15], v[0:1]
	;; [unrolled: 2-line block ×5, first 2 shown]
	v_mul_f64 v[0:1], v[8:9], v[84:85]
	scratch_load_dwordx4 v[82:85], off, off offset:896 ; 16-byte Folded Reload
	v_fmac_f64_e32 v[32:33], v[6:7], v[0:1]
	v_mul_f64 v[0:1], v[8:9], v[48:49]
	scratch_load_dwordx4 v[42:45], off, off offset:688 ; 16-byte Folded Reload
	scratch_load_dwordx4 v[46:49], off, off offset:752 ; 16-byte Folded Reload
	v_fmac_f64_e32 v[32:33], v[8:9], v[0:1]
	v_mul_f64 v[0:1], v[8:9], v[96:97]
	scratch_load_dwordx4 v[94:97], off, off offset:800 ; 16-byte Folded Reload
	v_fmac_f64_e32 v[32:33], v[10:11], v[0:1]
	v_mul_f64 v[0:1], v[8:9], v[36:37]
	scratch_load_dwordx4 v[34:37], off, off offset:832 ; 16-byte Folded Reload
	v_fmac_f64_e32 v[32:33], v[12:13], v[0:1]
	v_mul_f64 v[0:1], v[8:9], v[30:31]
	v_fmac_f64_e32 v[32:33], v[14:15], v[0:1]
	v_mul_f64 v[0:1], v[8:9], v[80:81]
	v_fmac_f64_e32 v[32:33], v[16:17], v[0:1]
	s_waitcnt vmcnt(4)
	v_mul_f64 v[0:1], v[10:11], v[82:83]
	v_fmac_f64_e32 v[32:33], v[2:3], v[0:1]
	s_waitcnt vmcnt(3)
	;; [unrolled: 3-line block ×3, first 2 shown]
	v_mul_f64 v[0:1], v[10:11], v[94:95]
	v_fmac_f64_e32 v[32:33], v[6:7], v[0:1]
	v_mul_f64 v[0:1], v[10:11], v[46:47]
	v_fmac_f64_e32 v[32:33], v[8:9], v[0:1]
	;; [unrolled: 2-line block ×3, first 2 shown]
	s_waitcnt vmcnt(0)
	v_mul_f64 v[0:1], v[10:11], v[34:35]
	v_fmac_f64_e32 v[32:33], v[12:13], v[0:1]
	v_mul_f64 v[0:1], v[10:11], v[70:71]
	v_fmac_f64_e32 v[32:33], v[14:15], v[0:1]
	;; [unrolled: 2-line block ×4, first 2 shown]
	v_mul_f64 v[0:1], v[12:13], v[44:45]
	scratch_load_dwordx4 v[82:85], off, off offset:976 ; 16-byte Folded Reload
	v_fmac_f64_e32 v[32:33], v[4:5], v[0:1]
	v_mul_f64 v[0:1], v[12:13], v[96:97]
	v_fmac_f64_e32 v[32:33], v[6:7], v[0:1]
	v_mul_f64 v[0:1], v[12:13], v[48:49]
	scratch_load_dwordx4 v[46:49], off, off offset:864 ; 16-byte Folded Reload
	scratch_load_dwordx4 v[94:97], off, off offset:784 ; 16-byte Folded Reload
	v_fmac_f64_e32 v[32:33], v[8:9], v[0:1]
	v_mul_f64 v[0:1], v[12:13], v[88:89]
	v_fmac_f64_e32 v[32:33], v[10:11], v[0:1]
	v_mul_f64 v[0:1], v[12:13], v[36:37]
	scratch_load_dwordx4 v[34:37], off, off offset:512 ; 16-byte Folded Reload
	v_fmac_f64_e32 v[32:33], v[12:13], v[0:1]
	v_mul_f64 v[0:1], v[12:13], v[72:73]
	v_fmac_f64_e32 v[32:33], v[14:15], v[0:1]
	v_mul_f64 v[0:1], v[12:13], v[76:77]
	v_fmac_f64_e32 v[32:33], v[16:17], v[0:1]
	s_waitcnt vmcnt(3)
	v_mul_f64 v[0:1], v[14:15], v[82:83]
	v_fmac_f64_e32 v[32:33], v[2:3], v[0:1]
	v_mul_f64 v[0:1], v[14:15], v[108:109]
	v_fmac_f64_e32 v[32:33], v[4:5], v[0:1]
	s_waitcnt vmcnt(1)
	;; [unrolled: 5-line block ×3, first 2 shown]
	v_mul_f64 v[0:1], v[14:15], v[34:35]
	v_fmac_f64_e32 v[32:33], v[10:11], v[0:1]
	v_mul_f64 v[0:1], v[14:15], v[104:105]
	v_fmac_f64_e32 v[32:33], v[12:13], v[0:1]
	;; [unrolled: 2-line block ×7, first 2 shown]
	v_mul_f64 v[0:1], v[16:17], v[48:49]
	v_mov_b64_e32 v[96:97], v[40:41]
	v_fmac_f64_e32 v[32:33], v[8:9], v[0:1]
	v_mul_f64 v[0:1], v[16:17], v[36:37]
	v_mov_b64_e32 v[34:35], v[50:51]
	v_mov_b64_e32 v[94:95], v[38:39]
	scratch_load_dwordx4 v[38:41], off, off offset:208 ; 16-byte Folded Reload
	scratch_load_dwordx4 v[46:49], off, off ; 16-byte Folded Reload
	v_mov_b64_e32 v[36:37], v[52:53]
	scratch_load_dwordx4 v[50:53], off, off offset:80 ; 16-byte Folded Reload
	v_fmac_f64_e32 v[32:33], v[10:11], v[0:1]
	v_mul_f64 v[0:1], v[16:17], v[106:107]
	v_fmac_f64_e32 v[32:33], v[12:13], v[0:1]
	v_mul_f64 v[0:1], v[16:17], v[26:27]
	;; [unrolled: 2-line block ×3, first 2 shown]
	v_fmac_f64_e32 v[32:33], v[16:17], v[0:1]
.LBB0_26:                               ;   in Loop: Header=BB0_21 Depth=1
	s_waitcnt vmcnt(2)
	v_mov_b64_e32 v[44:45], v[40:41]
	s_cmp_lt_i32 s19, s28
	v_mov_b64_e32 v[42:43], v[38:39]
	scratch_store_dwordx4 off, v[100:103], off offset:656 ; 16-byte Folded Spill
	scratch_store_dwordx4 off, v[28:31], off offset:640 ; 16-byte Folded Spill
	;; [unrolled: 1-line block ×4, first 2 shown]
	global_store_dwordx2 v[22:23], v[32:33], off
	scratch_store_dwordx4 off, v[54:57], off offset:1048 ; 16-byte Folded Spill
	s_nop 0
	scratch_store_dwordx4 off, v[58:61], off offset:1064 ; 16-byte Folded Spill
	scratch_store_dwordx4 off, v[62:65], off offset:1080 ; 16-byte Folded Spill
	;; [unrolled: 1-line block ×3, first 2 shown]
	scratch_store_dwordx2 off, v[20:21], off offset:1704 ; 8-byte Folded Spill
	scratch_store_dwordx2 off, v[22:23], off offset:1712 ; 8-byte Folded Spill
	scratch_store_dwordx4 off, v[124:127], off offset:928 ; 16-byte Folded Spill
	scratch_store_dwordx4 off, v[74:77], off offset:944 ; 16-byte Folded Spill
	;; [unrolled: 1-line block ×4, first 2 shown]
	s_cbranch_scc1 .LBB0_28
; %bb.27:                               ;   in Loop: Header=BB0_21 Depth=1
	scratch_load_dwordx2 v[4:5], off, off offset:2560 ; 8-byte Folded Reload
	v_frexp_mant_f64_e32 v[0:1], v[32:33]
	v_cmp_gt_f64_e32 vcc, s[6:7], v[0:1]
	v_mov_b32_e32 v2, 0x3ff00000
	v_frexp_exp_i32_f64_e32 v18, v[32:33]
	s_waitcnt vmcnt(0)
	v_cndmask_b32_e64 v5, v2, 2.0, vcc
	v_subbrev_co_u32_e32 v30, vcc, 0, v18, vcc
	v_cmp_class_f64_e64 vcc, v[32:33], s20
	scratch_load_dwordx4 v[14:17], off, off offset:704 ; 16-byte Folded Reload
	v_mov_b64_e32 v[110:111], v[52:53]
	v_mov_b64_e32 v[102:103], v[36:37]
	;; [unrolled: 1-line block ×4, first 2 shown]
	v_mul_f64 v[0:1], v[0:1], v[4:5]
	v_add_f64 v[18:19], v[0:1], 1.0
	v_rcp_f64_e32 v[20:21], v[18:19]
	v_add_f64 v[24:25], v[18:19], -1.0
	v_add_f64 v[22:23], v[0:1], -1.0
	v_add_f64 v[0:1], v[0:1], -v[24:25]
	v_fma_f64 v[24:25], -v[18:19], v[20:21], 1.0
	v_fmac_f64_e32 v[20:21], v[24:25], v[20:21]
	v_fma_f64 v[24:25], -v[18:19], v[20:21], 1.0
	v_fmac_f64_e32 v[20:21], v[24:25], v[20:21]
	v_mul_f64 v[24:25], v[22:23], v[20:21]
	v_mul_f64 v[26:27], v[18:19], v[24:25]
	v_fma_f64 v[18:19], v[24:25], v[18:19], -v[26:27]
	v_fmac_f64_e32 v[18:19], v[24:25], v[0:1]
	v_add_f64 v[0:1], v[26:27], v[18:19]
	v_add_f64 v[28:29], v[22:23], -v[0:1]
	v_add_f64 v[26:27], v[0:1], -v[26:27]
	;; [unrolled: 1-line block ×5, first 2 shown]
	v_add_f64 v[0:1], v[18:19], v[0:1]
	v_add_f64 v[0:1], v[28:29], v[0:1]
	v_mul_f64 v[0:1], v[20:21], v[0:1]
	v_add_f64 v[18:19], v[24:25], v[0:1]
	scratch_load_dwordx2 v[22:23], off, off offset:2568 ; 8-byte Folded Reload
	v_add_f64 v[20:21], v[18:19], -v[24:25]
	scratch_load_dwordx2 v[24:25], off, off offset:2576 ; 8-byte Folded Reload
	v_add_f64 v[0:1], v[0:1], -v[20:21]
	v_mul_f64 v[20:21], v[18:19], v[18:19]
	v_ldexp_f64 v[0:1], v[0:1], 1
	v_mov_b32_e32 v2, v4
	scratch_store_dwordx2 off, v[2:3], off offset:2560 ; 8-byte Folded Spill
	v_mov_b32_e32 v2, 0x7ff80000
	s_waitcnt vmcnt(2)
	v_fmac_f64_e32 v[22:23], s[10:11], v[20:21]
	s_waitcnt vmcnt(1)
	v_fmac_f64_e32 v[24:25], v[20:21], v[22:23]
	scratch_load_dwordx2 v[22:23], off, off offset:2584 ; 8-byte Folded Reload
	s_waitcnt vmcnt(0)
	v_fmac_f64_e32 v[22:23], v[20:21], v[24:25]
	scratch_load_dwordx2 v[24:25], off, off offset:2592 ; 8-byte Folded Reload
	;; [unrolled: 3-line block ×4, first 2 shown]
	s_waitcnt vmcnt(0)
	v_fmac_f64_e32 v[24:25], v[20:21], v[22:23]
	v_ldexp_f64 v[22:23], v[18:19], 1
	v_mul_f64 v[18:19], v[18:19], v[20:21]
	v_mul_f64 v[18:19], v[18:19], v[24:25]
	v_add_f64 v[20:21], v[22:23], v[18:19]
	v_add_f64 v[22:23], v[20:21], -v[22:23]
	v_add_f64 v[18:19], v[18:19], -v[22:23]
	v_add_f64 v[0:1], v[0:1], v[18:19]
	v_add_f64 v[18:19], v[20:21], v[0:1]
	v_add_f64 v[20:21], v[18:19], -v[20:21]
	v_add_f64 v[0:1], v[0:1], -v[20:21]
	v_cvt_f64_i32_e32 v[20:21], v30
	v_mul_f64 v[22:23], v[20:21], s[12:13]
	v_fma_f64 v[24:25], v[20:21], s[12:13], -v[22:23]
	v_fmac_f64_e32 v[24:25], s[14:15], v[20:21]
	v_add_f64 v[20:21], v[22:23], v[24:25]
	v_add_f64 v[22:23], v[20:21], -v[22:23]
	v_add_f64 v[22:23], v[24:25], -v[22:23]
	v_add_f64 v[24:25], v[20:21], v[18:19]
	v_add_f64 v[26:27], v[24:25], -v[20:21]
	v_add_f64 v[28:29], v[24:25], -v[26:27]
	;; [unrolled: 1-line block ×4, first 2 shown]
	v_add_f64 v[18:19], v[18:19], v[20:21]
	v_add_f64 v[20:21], v[22:23], v[0:1]
	v_add_f64 v[26:27], v[20:21], -v[22:23]
	v_add_f64 v[28:29], v[20:21], -v[26:27]
	v_add_f64 v[18:19], v[20:21], v[18:19]
	v_add_f64 v[22:23], v[22:23], -v[28:29]
	v_add_f64 v[0:1], v[0:1], -v[26:27]
	v_add_f64 v[20:21], v[24:25], v[18:19]
	v_add_f64 v[0:1], v[0:1], v[22:23]
	v_add_f64 v[22:23], v[20:21], -v[24:25]
	v_add_f64 v[18:19], v[18:19], -v[22:23]
	v_add_f64 v[0:1], v[0:1], v[18:19]
	v_add_f64 v[0:1], v[20:21], v[0:1]
	v_cndmask_b32_e32 v0, v0, v32, vcc
	v_cndmask_b32_e32 v1, v1, v33, vcc
	v_cmp_ngt_f64_e32 vcc, 0, v[32:33]
	s_nop 1
	v_cndmask_b32_e32 v1, v2, v1, vcc
	v_cmp_nge_f64_e32 vcc, 0, v[32:33]
	v_mov_b32_e32 v2, 0xfff00000
	s_nop 0
	v_cndmask_b32_e32 v0, 0, v0, vcc
	v_cmp_neq_f64_e32 vcc, 0, v[32:33]
	s_nop 1
	v_cndmask_b32_e32 v1, v2, v1, vcc
	scratch_load_dwordx2 v[2:3], off, off offset:2552 ; 8-byte Folded Reload
	s_waitcnt vmcnt(0)
	v_add_f64 v[2:3], v[2:3], v[0:1]
	scratch_store_dwordx2 off, v[2:3], off offset:2552 ; 8-byte Folded Spill
	s_branch .LBB0_29
.LBB0_28:                               ;   in Loop: Header=BB0_21 Depth=1
	scratch_load_dwordx4 v[14:17], off, off offset:704 ; 16-byte Folded Reload
	s_waitcnt vmcnt(16)
	v_mov_b64_e32 v[110:111], v[52:53]
	v_mov_b64_e32 v[102:103], v[36:37]
	;; [unrolled: 1-line block ×4, first 2 shown]
.LBB0_29:                               ;   in Loop: Header=BB0_21 Depth=1
	scratch_load_dwordx4 v[18:21], off, off offset:912 ; 16-byte Folded Reload
	scratch_load_dwordx4 v[82:85], off, off offset:144 ; 16-byte Folded Reload
	;; [unrolled: 1-line block ×12, first 2 shown]
	v_mov_b64_e32 v[10:11], v[112:113]
	v_mov_b64_e32 v[68:69], v[44:45]
	;; [unrolled: 1-line block ×4, first 2 shown]
	s_and_b64 vcc, exec, s[2:3]
	s_waitcnt vmcnt(9)
	v_fma_f64 v[0:1], v[34:35], v[94:95], 0
	v_fma_f64 v[2:3], v[36:37], v[94:95], 0
	s_waitcnt vmcnt(8)
	v_fmac_f64_e32 v[0:1], v[50:51], v[96:97]
	v_fmac_f64_e32 v[2:3], v[52:53], v[96:97]
	s_waitcnt vmcnt(6)
	v_fma_f64 v[22:23], v[38:39], v[94:95], 0
	v_fma_f64 v[4:5], v[40:41], v[94:95], 0
	s_waitcnt vmcnt(4)
	v_fma_f64 v[26:27], v[86:87], v[94:95], 0
	v_fma_f64 v[28:29], v[88:89], v[94:95], 0
	;; [unrolled: 3-line block ×3, first 2 shown]
	v_fmac_f64_e32 v[22:23], v[78:79], v[96:97]
	v_fmac_f64_e32 v[4:5], v[80:81], v[96:97]
	;; [unrolled: 1-line block ×6, first 2 shown]
	s_waitcnt vmcnt(1)
	v_fmac_f64_e32 v[0:1], v[54:55], v[18:19]
	v_fmac_f64_e32 v[2:3], v[56:57], v[18:19]
	v_mov_b64_e32 v[98:99], v[56:57]
	v_fmac_f64_e32 v[0:1], v[58:59], v[20:21]
	v_mov_b64_e32 v[96:97], v[54:55]
	;; [unrolled: 2-line block ×3, first 2 shown]
	v_fmac_f64_e32 v[22:23], v[42:43], v[18:19]
	v_fmac_f64_e32 v[4:5], v[44:45], v[18:19]
	scratch_load_dwordx4 v[54:57], off, off offset:256 ; 16-byte Folded Reload
	scratch_load_dwordx4 v[42:45], off, off offset:304 ; 16-byte Folded Reload
	v_mov_b64_e32 v[24:25], v[0:1]
	v_mov_b64_e32 v[112:113], v[58:59]
	;; [unrolled: 1-line block ×3, first 2 shown]
	scratch_load_dwordx4 v[0:3], off, off offset:464 ; 16-byte Folded Reload
	v_fmac_f64_e32 v[22:23], v[46:47], v[20:21]
	v_fmac_f64_e32 v[4:5], v[48:49], v[20:21]
	v_mov_b64_e32 v[60:61], v[22:23]
	s_waitcnt vmcnt(2)
	v_fmac_f64_e32 v[26:27], v[54:55], v[18:19]
	v_fmac_f64_e32 v[28:29], v[56:57], v[18:19]
	s_waitcnt vmcnt(1)
	v_fmac_f64_e32 v[30:31], v[42:43], v[18:19]
	v_fmac_f64_e32 v[118:119], v[44:45], v[18:19]
	;; [unrolled: 1-line block ×3, first 2 shown]
	s_waitcnt vmcnt(0)
	v_fmac_f64_e32 v[26:27], v[0:1], v[20:21]
	v_fmac_f64_e32 v[28:29], v[2:3], v[20:21]
	;; [unrolled: 1-line block ×3, first 2 shown]
	scratch_load_dwordx4 v[18:21], off, off offset:32 ; 16-byte Folded Reload
	scratch_load_dwordx4 v[62:65], off, off offset:896 ; 16-byte Folded Reload
	;; [unrolled: 1-line block ×4, first 2 shown]
	v_mov_b64_e32 v[22:23], v[28:29]
	s_waitcnt vmcnt(2)
	v_fmac_f64_e32 v[24:25], v[18:19], v[62:63]
	v_fmac_f64_e32 v[26:27], v[108:109], v[62:63]
	;; [unrolled: 1-line block ×4, first 2 shown]
	v_mov_b64_e32 v[18:19], v[24:25]
	v_fmac_f64_e32 v[58:59], v[20:21], v[62:63]
	v_mov_b64_e32 v[90:91], v[26:27]
	scratch_load_dwordx4 v[24:27], off, off offset:128 ; 16-byte Folded Reload
	v_fmac_f64_e32 v[58:59], v[102:103], v[64:65]
	scratch_load_dwordx4 v[100:103], off, off offset:432 ; 16-byte Folded Reload
	s_waitcnt vmcnt(3)
	v_fmac_f64_e32 v[60:61], v[46:47], v[62:63]
	v_fmac_f64_e32 v[4:5], v[48:49], v[62:63]
	;; [unrolled: 1-line block ×3, first 2 shown]
	s_waitcnt vmcnt(2)
	v_fmac_f64_e32 v[60:61], v[74:75], v[64:65]
	v_fmac_f64_e32 v[4:5], v[76:77], v[64:65]
	;; [unrolled: 1-line block ×3, first 2 shown]
	s_waitcnt vmcnt(1)
	v_fmac_f64_e32 v[30:31], v[24:25], v[62:63]
	v_fmac_f64_e32 v[118:119], v[26:27], v[62:63]
	s_waitcnt vmcnt(0)
	v_fmac_f64_e32 v[30:31], v[100:101], v[64:65]
	v_fmac_f64_e32 v[118:119], v[102:103], v[64:65]
	scratch_load_dwordx4 v[62:65], off, off offset:976 ; 16-byte Folded Reload
	scratch_load_dwordx4 v[74:77], off, off offset:160 ; 16-byte Folded Reload
	v_mov_b64_e32 v[24:25], v[82:83]
	v_mov_b64_e32 v[26:27], v[84:85]
	scratch_load_dwordx4 v[82:85], off, off offset:400 ; 16-byte Folded Reload
	scratch_load_dwordx4 v[108:111], off, off offset:448 ; 16-byte Folded Reload
	;; [unrolled: 1-line block ×4, first 2 shown]
	s_waitcnt vmcnt(4)
	v_fmac_f64_e32 v[18:19], v[74:75], v[62:63]
	v_fmac_f64_e32 v[58:59], v[76:77], v[62:63]
	s_waitcnt vmcnt(3)
	v_fmac_f64_e32 v[18:19], v[82:83], v[64:65]
	scratch_store_dwordx2 off, v[18:19], off offset:1416 ; 8-byte Folded Spill
	scratch_load_dwordx4 v[18:21], off, off offset:96 ; 16-byte Folded Reload
	s_waitcnt vmcnt(4)
	v_fmac_f64_e32 v[60:61], v[108:109], v[62:63]
	v_fmac_f64_e32 v[58:59], v[84:85], v[64:65]
	;; [unrolled: 1-line block ×3, first 2 shown]
	scratch_store_dwordx2 off, v[58:59], off offset:1408 ; 8-byte Folded Spill
	s_waitcnt vmcnt(4)
	v_fmac_f64_e32 v[30:31], v[122:123], v[62:63]
	v_fmac_f64_e32 v[118:119], v[124:125], v[62:63]
	s_waitcnt vmcnt(3)
	v_fmac_f64_e32 v[90:91], v[92:93], v[62:63]
	v_fmac_f64_e32 v[22:23], v[94:95], v[62:63]
	s_waitcnt vmcnt(1)
	v_fmac_f64_e32 v[60:61], v[18:19], v[64:65]
	scratch_store_dwordx2 off, v[60:61], off offset:1392 ; 8-byte Folded Spill
	v_fmac_f64_e32 v[4:5], v[20:21], v[64:65]
	scratch_load_dwordx4 v[18:21], off, off offset:288 ; 16-byte Folded Reload
	scratch_load_dwordx4 v[58:61], off, off offset:272 ; 16-byte Folded Reload
	s_waitcnt vmcnt(1)
	v_fmac_f64_e32 v[90:91], v[18:19], v[64:65]
	v_fmac_f64_e32 v[22:23], v[20:21], v[64:65]
	s_waitcnt vmcnt(0)
	v_fmac_f64_e32 v[30:31], v[58:59], v[64:65]
	v_fmac_f64_e32 v[118:119], v[60:61], v[64:65]
	scratch_load_dwordx4 v[62:65], off, off offset:816 ; 16-byte Folded Reload
	s_waitcnt vmcnt(0)
	v_fma_f64 v[18:19], v[40:41], v[62:63], 0
	scratch_store_dwordx2 off, v[4:5], off offset:1368 ; 8-byte Folded Spill
	scratch_store_dwordx2 off, v[22:23], off offset:1352 ; 8-byte Folded Spill
	;; [unrolled: 1-line block ×3, first 2 shown]
	v_fma_f64 v[4:5], v[34:35], v[62:63], 0
	v_fma_f64 v[22:23], v[36:37], v[62:63], 0
	;; [unrolled: 1-line block ×7, first 2 shown]
	v_fmac_f64_e32 v[4:5], v[50:51], v[64:65]
	v_fmac_f64_e32 v[22:23], v[52:53], v[64:65]
	;; [unrolled: 1-line block ×8, first 2 shown]
	scratch_load_dwordx4 v[62:65], off, off ; 16-byte Folded Reload
	v_fmac_f64_e32 v[36:37], v[66:67], v[14:15]
	scratch_store_dwordx2 off, v[90:91], off offset:1360 ; 8-byte Folded Spill
	v_fmac_f64_e32 v[4:5], v[96:97], v[14:15]
	v_fmac_f64_e32 v[22:23], v[98:99], v[14:15]
	;; [unrolled: 1-line block ×7, first 2 shown]
	v_mov_b64_e32 v[106:107], v[72:73]
	v_mov_b64_e32 v[80:81], v[8:9]
	v_fmac_f64_e32 v[4:5], v[112:113], v[16:17]
	v_fmac_f64_e32 v[22:23], v[114:115], v[16:17]
	;; [unrolled: 1-line block ×6, first 2 shown]
	v_mov_b64_e32 v[104:105], v[70:71]
	v_mov_b64_e32 v[78:79], v[6:7]
	;; [unrolled: 1-line block ×8, first 2 shown]
	s_waitcnt vmcnt(1)
	v_fmac_f64_e32 v[36:37], v[62:63], v[16:17]
	scratch_load_dwordx4 v[62:65], off, off ; 16-byte Folded Reload
	s_waitcnt vmcnt(0)
	v_fmac_f64_e32 v[18:19], v[64:65], v[16:17]
	scratch_load_dwordx4 v[70:73], off, off offset:688 ; 16-byte Folded Reload
	scratch_load_dwordx4 v[14:17], off, off offset:32 ; 16-byte Folded Reload
	scratch_load_dwordx4 v[6:9], off, off offset:64 ; 16-byte Folded Reload
	scratch_load_dwordx4 v[42:45], off, off offset:96 ; 16-byte Folded Reload
	scratch_load_dwordx4 v[62:65], off, off offset:576 ; 16-byte Folded Reload
	s_waitcnt vmcnt(4)
	v_fmac_f64_e32 v[36:37], v[46:47], v[70:71]
	s_waitcnt vmcnt(3)
	v_fmac_f64_e32 v[4:5], v[14:15], v[70:71]
	v_fmac_f64_e32 v[22:23], v[16:17], v[70:71]
	v_fmac_f64_e32 v[18:19], v[48:49], v[70:71]
	scratch_load_dwordx4 v[46:49], off, off offset:128 ; 16-byte Folded Reload
	s_waitcnt vmcnt(3)
	v_fmac_f64_e32 v[4:5], v[6:7], v[72:73]
	v_fmac_f64_e32 v[22:23], v[8:9], v[72:73]
	scratch_load_dwordx4 v[6:9], off, off offset:48 ; 16-byte Folded Reload
	s_waitcnt vmcnt(2)
	v_fmac_f64_e32 v[4:5], v[74:75], v[62:63]
	v_fmac_f64_e32 v[22:23], v[76:77], v[62:63]
	;; [unrolled: 1-line block ×4, first 2 shown]
	scratch_store_dwordx2 off, v[4:5], off offset:1608 ; 8-byte Folded Spill
	scratch_store_dwordx2 off, v[22:23], off offset:1432 ; 8-byte Folded Spill
	s_waitcnt vmcnt(3)
	v_fmac_f64_e32 v[34:35], v[46:47], v[70:71]
	v_fmac_f64_e32 v[30:31], v[48:49], v[70:71]
	;; [unrolled: 1-line block ×3, first 2 shown]
	s_waitcnt vmcnt(2)
	v_fmac_f64_e32 v[36:37], v[6:7], v[72:73]
	v_fmac_f64_e32 v[18:19], v[8:9], v[72:73]
	scratch_load_dwordx4 v[6:9], off, off offset:80 ; 16-byte Folded Reload
	v_fmac_f64_e32 v[30:31], v[102:103], v[72:73]
	v_fmac_f64_e32 v[36:37], v[108:109], v[62:63]
	;; [unrolled: 1-line block ×9, first 2 shown]
	scratch_store_dwordx2 off, v[36:37], off offset:1424 ; 8-byte Folded Spill
	scratch_store_dwordx2 off, v[18:19], off offset:1568 ; 8-byte Folded Spill
	;; [unrolled: 1-line block ×4, first 2 shown]
	s_waitcnt vmcnt(4)
	v_fmac_f64_e32 v[20:21], v[6:7], v[70:71]
	v_fmac_f64_e32 v[38:39], v[8:9], v[70:71]
	;; [unrolled: 1-line block ×4, first 2 shown]
	scratch_load_dwordx4 v[24:27], off, off offset:288 ; 16-byte Folded Reload
	v_fmac_f64_e32 v[20:21], v[92:93], v[62:63]
	v_fmac_f64_e32 v[38:39], v[94:95], v[62:63]
	s_waitcnt vmcnt(0)
	v_fmac_f64_e32 v[20:21], v[24:25], v[64:65]
	v_fmac_f64_e32 v[38:39], v[26:27], v[64:65]
	scratch_store_dwordx2 off, v[20:21], off offset:1528 ; 8-byte Folded Spill
	scratch_store_dwordx2 off, v[38:39], off offset:1376 ; 8-byte Folded Spill
	scratch_load_dwordx4 v[62:65], off, off offset:672 ; 16-byte Folded Reload
	scratch_load_dwordx4 v[70:73], off, off offset:480 ; 16-byte Folded Reload
	;; [unrolled: 1-line block ×5, first 2 shown]
	v_mov_b64_e32 v[40:41], v[26:27]
	v_mov_b64_e32 v[38:39], v[24:25]
	scratch_load_dwordx4 v[22:25], off, off offset:320 ; 16-byte Folded Reload
	s_waitcnt vmcnt(5)
	v_fma_f64 v[36:37], v[78:79], v[62:63], 0
	s_waitcnt vmcnt(4)
	v_fma_f64 v[4:5], v[70:71], v[62:63], 0
	s_waitcnt vmcnt(3)
	v_fmac_f64_e32 v[4:5], v[6:7], v[64:65]
	v_fma_f64 v[6:7], v[72:73], v[62:63], 0
	v_fmac_f64_e32 v[6:7], v[8:9], v[64:65]
	s_waitcnt vmcnt(2)
	v_fma_f64 v[8:9], v[14:15], v[62:63], 0
	s_waitcnt vmcnt(1)
	v_fmac_f64_e32 v[8:9], v[18:19], v[64:65]
	v_fma_f64 v[18:19], v[16:17], v[62:63], 0
	scratch_load_dwordx4 v[14:17], off, off offset:352 ; 16-byte Folded Reload
	v_fmac_f64_e32 v[18:19], v[20:21], v[64:65]
	v_fma_f64 v[30:31], v[80:81], v[62:63], 0
	v_fmac_f64_e32 v[36:37], v[10:11], v[64:65]
	v_fmac_f64_e32 v[30:31], v[12:13], v[64:65]
	s_waitcnt vmcnt(0)
	v_fma_f64 v[20:21], v[14:15], v[62:63], 0
	v_fma_f64 v[26:27], v[16:17], v[62:63], 0
	scratch_load_dwordx4 v[14:17], off, off ; 16-byte Folded Reload
	v_fmac_f64_e32 v[20:21], v[22:23], v[64:65]
	v_fmac_f64_e32 v[26:27], v[24:25], v[64:65]
	scratch_load_dwordx4 v[62:65], off, off offset:560 ; 16-byte Folded Reload
	s_waitcnt vmcnt(0)
	v_fmac_f64_e32 v[8:9], v[50:51], v[62:63]
	v_fmac_f64_e32 v[8:9], v[14:15], v[64:65]
	scratch_load_dwordx4 v[14:17], off, off ; 16-byte Folded Reload
	v_fmac_f64_e32 v[4:5], v[96:97], v[62:63]
	v_fmac_f64_e32 v[6:7], v[98:99], v[62:63]
	;; [unrolled: 1-line block ×13, first 2 shown]
	s_waitcnt vmcnt(0)
	v_fmac_f64_e32 v[18:19], v[16:17], v[64:65]
	scratch_load_dwordx4 v[62:65], off, off offset:800 ; 16-byte Folded Reload
	scratch_load_dwordx4 v[10:13], off, off offset:32 ; 16-byte Folded Reload
	;; [unrolled: 1-line block ×3, first 2 shown]
	s_waitcnt vmcnt(1)
	v_fmac_f64_e32 v[4:5], v[10:11], v[62:63]
	v_fmac_f64_e32 v[6:7], v[12:13], v[62:63]
	scratch_load_dwordx4 v[10:13], off, off offset:16 ; 16-byte Folded Reload
	s_waitcnt vmcnt(1)
	v_fmac_f64_e32 v[4:5], v[14:15], v[64:65]
	v_fmac_f64_e32 v[6:7], v[16:17], v[64:65]
	scratch_load_dwordx4 v[14:17], off, off offset:48 ; 16-byte Folded Reload
	;; [unrolled: 4-line block ×4, first 2 shown]
	s_waitcnt vmcnt(1)
	v_fmac_f64_e32 v[20:21], v[10:11], v[62:63]
	v_fmac_f64_e32 v[26:27], v[12:13], v[62:63]
	v_mov_b64_e32 v[10:11], v[46:47]
	v_mov_b64_e32 v[12:13], v[48:49]
	v_fmac_f64_e32 v[36:37], v[10:11], v[62:63]
	v_fmac_f64_e32 v[30:31], v[12:13], v[62:63]
	v_fmac_f64_e32 v[20:21], v[66:67], v[64:65]
	v_fmac_f64_e32 v[26:27], v[68:69], v[64:65]
	v_fmac_f64_e32 v[36:37], v[100:101], v[64:65]
	v_fmac_f64_e32 v[30:31], v[102:103], v[64:65]
	scratch_load_dwordx4 v[62:65], off, off offset:784 ; 16-byte Folded Reload
	s_waitcnt vmcnt(0)
	v_fmac_f64_e32 v[4:5], v[74:75], v[62:63]
	v_fmac_f64_e32 v[6:7], v[76:77], v[62:63]
	;; [unrolled: 1-line block ×16, first 2 shown]
	scratch_load_dwordx4 v[62:65], off, off offset:768 ; 16-byte Folded Reload
	v_mov_b64_e32 v[76:77], v[16:17]
	scratch_store_dwordx2 off, v[4:5], off offset:1616 ; 8-byte Folded Spill
	scratch_store_dwordx2 off, v[26:27], off offset:1384 ; 8-byte Folded Spill
	;; [unrolled: 1-line block ×3, first 2 shown]
	scratch_load_dwordx4 v[28:31], off, off offset:192 ; 16-byte Folded Reload
	v_mov_b64_e32 v[74:75], v[14:15]
	scratch_store_dwordx2 off, v[18:19], off offset:1576 ; 8-byte Folded Spill
	scratch_store_dwordx2 off, v[20:21], off offset:1560 ; 8-byte Folded Spill
	v_mov_b64_e32 v[18:19], v[58:59]
	v_mov_b64_e32 v[20:21], v[60:61]
	scratch_load_dwordx4 v[58:61], off, off offset:384 ; 16-byte Folded Reload
	s_waitcnt vmcnt(7)
	v_fma_f64 v[26:27], v[14:15], v[62:63], 0
	v_fma_f64 v[4:5], v[16:17], v[62:63], 0
	scratch_load_dwordx4 v[14:17], off, off offset:352 ; 16-byte Folded Reload
	v_fma_f64 v[24:25], v[70:71], v[62:63], 0
	scratch_store_dwordx2 off, v[6:7], off offset:1600 ; 8-byte Folded Spill
	scratch_store_dwordx2 off, v[8:9], off offset:1592 ; 8-byte Folded Spill
	;; [unrolled: 1-line block ×3, first 2 shown]
	v_fma_f64 v[54:55], v[72:73], v[62:63], 0
	v_fma_f64 v[116:117], v[78:79], v[62:63], 0
	v_mov_b64_e32 v[6:7], v[42:43]
	v_mov_b64_e32 v[8:9], v[44:45]
	;; [unrolled: 1-line block ×4, first 2 shown]
	s_waitcnt vmcnt(3)
	v_fma_f64 v[98:99], v[14:15], v[62:63], 0
	v_fma_f64 v[22:23], v[16:17], v[62:63], 0
	scratch_load_dwordx4 v[14:17], off, off offset:240 ; 16-byte Folded Reload
	v_fmac_f64_e32 v[26:27], v[28:29], v[64:65]
	v_fmac_f64_e32 v[4:5], v[30:31], v[64:65]
	scratch_load_dwordx4 v[28:31], off, off offset:320 ; 16-byte Folded Reload
	v_fmac_f64_e32 v[24:25], v[58:59], v[64:65]
	v_fmac_f64_e32 v[54:55], v[60:61], v[64:65]
	s_waitcnt vmcnt(1)
	v_fmac_f64_e32 v[116:117], v[14:15], v[64:65]
	s_waitcnt vmcnt(0)
	v_fmac_f64_e32 v[98:99], v[28:29], v[64:65]
	v_fma_f64 v[28:29], v[80:81], v[62:63], 0
	v_fmac_f64_e32 v[22:23], v[30:31], v[64:65]
	v_fmac_f64_e32 v[28:29], v[16:17], v[64:65]
	scratch_load_dwordx4 v[62:65], off, off offset:880 ; 16-byte Folded Reload
	scratch_load_dwordx4 v[14:17], off, off offset:112 ; 16-byte Folded Reload
	;; [unrolled: 1-line block ×3, first 2 shown]
	v_mov_b64_e32 v[78:79], v[86:87]
	v_mov_b64_e32 v[80:81], v[88:89]
	s_waitcnt vmcnt(2)
	v_fmac_f64_e32 v[26:27], v[50:51], v[62:63]
	s_waitcnt vmcnt(1)
	v_fmac_f64_e32 v[24:25], v[14:15], v[62:63]
	v_fmac_f64_e32 v[54:55], v[16:17], v[62:63]
	scratch_load_dwordx4 v[14:17], off, off ; 16-byte Folded Reload
	v_fmac_f64_e32 v[4:5], v[52:53], v[62:63]
	s_waitcnt vmcnt(1)
	v_fmac_f64_e32 v[98:99], v[70:71], v[62:63]
	v_fmac_f64_e32 v[22:23], v[72:73], v[62:63]
	;; [unrolled: 1-line block ×10, first 2 shown]
	s_waitcnt vmcnt(0)
	v_fmac_f64_e32 v[26:27], v[14:15], v[64:65]
	scratch_load_dwordx4 v[14:17], off, off ; 16-byte Folded Reload
	s_waitcnt vmcnt(0)
	v_fmac_f64_e32 v[4:5], v[16:17], v[64:65]
	scratch_load_dwordx4 v[62:65], off, off offset:752 ; 16-byte Folded Reload
	scratch_load_dwordx4 v[14:17], off, off offset:32 ; 16-byte Folded Reload
	;; [unrolled: 1-line block ×3, first 2 shown]
	s_waitcnt vmcnt(2)
	v_fmac_f64_e32 v[116:117], v[10:11], v[62:63]
	s_waitcnt vmcnt(1)
	v_fmac_f64_e32 v[24:25], v[14:15], v[62:63]
	v_fmac_f64_e32 v[54:55], v[16:17], v[62:63]
	scratch_load_dwordx4 v[14:17], off, off offset:16 ; 16-byte Folded Reload
	s_waitcnt vmcnt(1)
	v_fmac_f64_e32 v[24:25], v[34:35], v[64:65]
	v_fmac_f64_e32 v[54:55], v[36:37], v[64:65]
	scratch_load_dwordx4 v[34:37], off, off offset:48 ; 16-byte Folded Reload
	v_fmac_f64_e32 v[28:29], v[12:13], v[62:63]
	v_fmac_f64_e32 v[116:117], v[100:101], v[64:65]
	;; [unrolled: 1-line block ×3, first 2 shown]
	s_waitcnt vmcnt(1)
	v_fmac_f64_e32 v[26:27], v[14:15], v[62:63]
	v_fmac_f64_e32 v[4:5], v[16:17], v[62:63]
	scratch_load_dwordx4 v[14:17], off, off offset:80 ; 16-byte Folded Reload
	s_waitcnt vmcnt(1)
	v_fmac_f64_e32 v[26:27], v[34:35], v[64:65]
	v_fmac_f64_e32 v[4:5], v[36:37], v[64:65]
	s_waitcnt vmcnt(0)
	v_fmac_f64_e32 v[98:99], v[14:15], v[62:63]
	v_fmac_f64_e32 v[22:23], v[16:17], v[62:63]
	;; [unrolled: 1-line block ×4, first 2 shown]
	scratch_load_dwordx4 v[62:65], off, off offset:864 ; 16-byte Folded Reload
	scratch_load_dwordx4 v[10:13], off, off offset:160 ; 16-byte Folded Reload
	v_mov_b64_e32 v[66:67], v[82:83]
	v_mov_b64_e32 v[68:69], v[84:85]
	scratch_load_dwordx4 v[14:17], off, off offset:320 ; 16-byte Folded Reload
	s_waitcnt vmcnt(2)
	v_fmac_f64_e32 v[26:27], v[108:109], v[62:63]
	s_waitcnt vmcnt(1)
	v_fmac_f64_e32 v[24:25], v[10:11], v[62:63]
	v_fmac_f64_e32 v[54:55], v[12:13], v[62:63]
	scratch_load_dwordx4 v[10:13], off, off offset:528 ; 16-byte Folded Reload
	v_fmac_f64_e32 v[4:5], v[110:111], v[62:63]
	v_fmac_f64_e32 v[26:27], v[6:7], v[64:65]
	;; [unrolled: 1-line block ×3, first 2 shown]
	v_mov_b64_e32 v[6:7], v[74:75]
	scratch_store_dwordx2 off, v[4:5], off offset:1584 ; 8-byte Folded Spill
	v_mov_b64_e32 v[8:9], v[76:77]
	v_fmac_f64_e32 v[22:23], v[94:95], v[62:63]
	v_fmac_f64_e32 v[22:23], v[40:41], v[64:65]
	;; [unrolled: 1-line block ×3, first 2 shown]
	scratch_store_dwordx2 off, v[22:23], off offset:1520 ; 8-byte Folded Spill
	v_fmac_f64_e32 v[116:117], v[122:123], v[62:63]
	v_fmac_f64_e32 v[28:29], v[20:21], v[64:65]
	v_mov_b64_e32 v[22:23], v[20:21]
	v_fmac_f64_e32 v[116:117], v[18:19], v[64:65]
	v_mov_b64_e32 v[20:21], v[18:19]
	v_fmac_f64_e32 v[98:99], v[92:93], v[62:63]
	v_fmac_f64_e32 v[24:25], v[82:83], v[64:65]
	;; [unrolled: 1-line block ×4, first 2 shown]
	v_mov_b64_e32 v[86:87], v[60:61]
	v_mov_b64_e32 v[84:85], v[58:59]
	s_waitcnt vmcnt(2)
	v_fma_f64 v[56:57], v[6:7], v[10:11], 0
	scratch_load_dwordx4 v[4:7], off, off offset:192 ; 16-byte Folded Reload
	v_fma_f64 v[126:127], v[8:9], v[10:11], 0
	v_fma_f64 v[18:19], v[44:45], v[10:11], 0
	;; [unrolled: 1-line block ×3, first 2 shown]
	v_fmac_f64_e32 v[18:19], v[58:59], v[12:13]
	v_fmac_f64_e32 v[34:35], v[60:61], v[12:13]
	s_waitcnt vmcnt(0)
	v_mov_b64_e32 v[76:77], v[6:7]
	v_fmac_f64_e32 v[56:57], v[4:5], v[12:13]
	v_fmac_f64_e32 v[126:127], v[6:7], v[12:13]
	v_mov_b64_e32 v[74:75], v[4:5]
	scratch_load_dwordx4 v[4:7], off, off offset:352 ; 16-byte Folded Reload
	v_mov_b64_e32 v[42:43], v[74:75]
	v_mov_b64_e32 v[44:45], v[76:77]
	s_waitcnt vmcnt(0)
	v_fma_f64 v[30:31], v[6:7], v[10:11], 0
	scratch_load_dwordx4 v[6:9], off, off offset:416 ; 16-byte Folded Reload
	v_fma_f64 v[104:105], v[4:5], v[10:11], 0
	v_fmac_f64_e32 v[104:105], v[14:15], v[12:13]
	v_fmac_f64_e32 v[30:31], v[16:17], v[12:13]
	s_waitcnt vmcnt(0)
	v_fma_f64 v[120:121], v[6:7], v[10:11], 0
	scratch_load_dwordx4 v[4:7], off, off offset:240 ; 16-byte Folded Reload
	v_fma_f64 v[90:91], v[8:9], v[10:11], 0
	s_waitcnt vmcnt(0)
	v_fmac_f64_e32 v[120:121], v[4:5], v[12:13]
	v_fmac_f64_e32 v[90:91], v[6:7], v[12:13]
	scratch_load_dwordx4 v[6:9], off, off offset:592 ; 16-byte Folded Reload
	scratch_load_dwordx4 v[10:13], off, off offset:112 ; 16-byte Folded Reload
	s_waitcnt vmcnt(1)
	v_fmac_f64_e32 v[56:57], v[50:51], v[6:7]
	s_waitcnt vmcnt(0)
	v_fmac_f64_e32 v[18:19], v[10:11], v[6:7]
	v_fmac_f64_e32 v[34:35], v[12:13], v[6:7]
	scratch_load_dwordx4 v[10:13], off, off ; 16-byte Folded Reload
	v_fmac_f64_e32 v[126:127], v[52:53], v[6:7]
	v_fmac_f64_e32 v[104:105], v[70:71], v[6:7]
	;; [unrolled: 1-line block ×9, first 2 shown]
	s_waitcnt vmcnt(0)
	v_fmac_f64_e32 v[56:57], v[10:11], v[8:9]
	scratch_load_dwordx4 v[10:13], off, off ; 16-byte Folded Reload
	s_waitcnt vmcnt(0)
	v_fmac_f64_e32 v[126:127], v[12:13], v[8:9]
	scratch_load_dwordx4 v[10:13], off, off offset:176 ; 16-byte Folded Reload
	scratch_load_dwordx4 v[14:17], off, off offset:992 ; 16-byte Folded Reload
	;; [unrolled: 1-line block ×3, first 2 shown]
	s_waitcnt vmcnt(2)
	v_fmac_f64_e32 v[120:121], v[10:11], v[8:9]
	v_fmac_f64_e32 v[90:91], v[12:13], v[8:9]
	scratch_load_dwordx4 v[8:11], off, off offset:64 ; 16-byte Folded Reload
	s_waitcnt vmcnt(1)
	v_fmac_f64_e32 v[18:19], v[4:5], v[14:15]
	v_fmac_f64_e32 v[34:35], v[6:7], v[14:15]
	scratch_load_dwordx4 v[4:7], off, off offset:16 ; 16-byte Folded Reload
	;; [unrolled: 4-line block ×3, first 2 shown]
	s_waitcnt vmcnt(1)
	v_fmac_f64_e32 v[56:57], v[4:5], v[14:15]
	v_fmac_f64_e32 v[126:127], v[6:7], v[14:15]
	s_waitcnt vmcnt(0)
	v_fmac_f64_e32 v[56:57], v[8:9], v[16:17]
	scratch_load_dwordx4 v[6:9], off, off offset:80 ; 16-byte Folded Reload
	v_fmac_f64_e32 v[126:127], v[10:11], v[16:17]
	s_waitcnt vmcnt(0)
	v_fmac_f64_e32 v[104:105], v[6:7], v[14:15]
	scratch_load_dwordx4 v[4:7], off, off offset:144 ; 16-byte Folded Reload
	v_fmac_f64_e32 v[30:31], v[8:9], v[14:15]
	s_waitcnt vmcnt(0)
	v_fmac_f64_e32 v[104:105], v[4:5], v[16:17]
	v_fmac_f64_e32 v[30:31], v[6:7], v[16:17]
	scratch_load_dwordx4 v[4:7], off, off offset:128 ; 16-byte Folded Reload
	s_waitcnt vmcnt(0)
	v_fmac_f64_e32 v[120:121], v[4:5], v[14:15]
	v_fmac_f64_e32 v[90:91], v[6:7], v[14:15]
	v_mov_b64_e32 v[14:15], v[6:7]
	v_mov_b64_e32 v[12:13], v[4:5]
	scratch_load_dwordx4 v[62:65], off, off offset:512 ; 16-byte Folded Reload
	scratch_load_dwordx4 v[4:7], off, off offset:160 ; 16-byte Folded Reload
	v_fmac_f64_e32 v[120:121], v[100:101], v[16:17]
	v_fmac_f64_e32 v[90:91], v[102:103], v[16:17]
	s_waitcnt vmcnt(1)
	v_fmac_f64_e32 v[30:31], v[94:95], v[62:63]
	s_waitcnt vmcnt(0)
	v_fmac_f64_e32 v[18:19], v[4:5], v[62:63]
	v_fmac_f64_e32 v[34:35], v[6:7], v[62:63]
	scratch_load_dwordx4 v[4:7], off, off offset:96 ; 16-byte Folded Reload
	v_fmac_f64_e32 v[18:19], v[66:67], v[64:65]
	v_fmac_f64_e32 v[30:31], v[40:41], v[64:65]
	scratch_store_dwordx2 off, v[18:19], off offset:1440 ; 8-byte Folded Spill
	v_fmac_f64_e32 v[56:57], v[108:109], v[62:63]
	v_fmac_f64_e32 v[126:127], v[110:111], v[62:63]
	;; [unrolled: 1-line block ×3, first 2 shown]
	scratch_store_dwordx2 off, v[30:31], off offset:1400 ; 8-byte Folded Spill
	v_fmac_f64_e32 v[120:121], v[122:123], v[62:63]
	v_fmac_f64_e32 v[90:91], v[124:125], v[62:63]
	;; [unrolled: 1-line block ×6, first 2 shown]
	s_waitcnt vmcnt(2)
	v_fmac_f64_e32 v[56:57], v[4:5], v[64:65]
	v_fmac_f64_e32 v[126:127], v[6:7], v[64:65]
	scratch_load_dwordx4 v[62:65], off, off offset:736 ; 16-byte Folded Reload
	scratch_load_dwordx4 v[48:51], off, off offset:480 ; 16-byte Folded Reload
	;; [unrolled: 1-line block ×3, first 2 shown]
	s_waitcnt vmcnt(1)
	v_fma_f64 v[78:79], v[48:49], v[62:63], 0
	s_waitcnt vmcnt(0)
	v_fma_f64 v[112:113], v[4:5], v[62:63], 0
	v_fma_f64 v[60:61], v[6:7], v[62:63], 0
	v_fmac_f64_e32 v[112:113], v[74:75], v[64:65]
	v_mov_b64_e32 v[68:69], v[6:7]
	v_fmac_f64_e32 v[60:61], v[76:77], v[64:65]
	scratch_load_dwordx4 v[74:77], off, off offset:352 ; 16-byte Folded Reload
	v_mov_b64_e32 v[66:67], v[4:5]
	scratch_load_dwordx4 v[4:7], off, off offset:320 ; 16-byte Folded Reload
	v_fma_f64 v[38:39], v[50:51], v[62:63], 0
	v_fmac_f64_e32 v[78:79], v[84:85], v[64:65]
	v_fmac_f64_e32 v[38:39], v[86:87], v[64:65]
	s_waitcnt vmcnt(1)
	v_fma_f64 v[82:83], v[76:77], v[62:63], 0
	v_fma_f64 v[106:107], v[74:75], v[62:63], 0
	s_waitcnt vmcnt(0)
	v_fmac_f64_e32 v[82:83], v[6:7], v[64:65]
	scratch_load_dwordx4 v[6:9], off, off offset:416 ; 16-byte Folded Reload
	v_fmac_f64_e32 v[106:107], v[4:5], v[64:65]
	s_waitcnt vmcnt(0)
	v_fma_f64 v[52:53], v[6:7], v[62:63], 0
	scratch_load_dwordx4 v[4:7], off, off offset:240 ; 16-byte Folded Reload
	v_fma_f64 v[30:31], v[8:9], v[62:63], 0
	s_waitcnt vmcnt(0)
	v_fmac_f64_e32 v[52:53], v[4:5], v[64:65]
	v_fmac_f64_e32 v[30:31], v[6:7], v[64:65]
	scratch_load_dwordx4 v[62:65], off, off offset:848 ; 16-byte Folded Reload
	scratch_load_dwordx4 v[6:9], off, off offset:112 ; 16-byte Folded Reload
	s_waitcnt vmcnt(1)
	v_fmac_f64_e32 v[106:107], v[70:71], v[62:63]
	s_waitcnt vmcnt(0)
	v_fmac_f64_e32 v[78:79], v[6:7], v[62:63]
	scratch_load_dwordx4 v[4:7], off, off offset:368 ; 16-byte Folded Reload
	v_fmac_f64_e32 v[38:39], v[8:9], v[62:63]
	v_fmac_f64_e32 v[82:83], v[72:73], v[62:63]
	;; [unrolled: 1-line block ×4, first 2 shown]
	s_waitcnt vmcnt(0)
	v_fmac_f64_e32 v[38:39], v[6:7], v[64:65]
	scratch_load_dwordx4 v[6:9], off, off offset:208 ; 16-byte Folded Reload
	v_fmac_f64_e32 v[78:79], v[4:5], v[64:65]
	s_waitcnt vmcnt(0)
	v_fmac_f64_e32 v[112:113], v[6:7], v[62:63]
	scratch_load_dwordx4 v[4:7], off, off   ; 16-byte Folded Reload
	v_fmac_f64_e32 v[60:61], v[8:9], v[62:63]
	scratch_load_dwordx4 v[8:11], off, off offset:176 ; 16-byte Folded Reload
	s_waitcnt vmcnt(1)
	v_fmac_f64_e32 v[112:113], v[4:5], v[64:65]
	scratch_load_dwordx4 v[4:7], off, off   ; 16-byte Folded Reload
	s_waitcnt vmcnt(0)
	v_fmac_f64_e32 v[60:61], v[6:7], v[64:65]
	scratch_load_dwordx4 v[4:7], off, off offset:304 ; 16-byte Folded Reload
	s_waitcnt vmcnt(0)
	v_fmac_f64_e32 v[52:53], v[4:5], v[62:63]
	v_fmac_f64_e32 v[30:31], v[6:7], v[62:63]
	;; [unrolled: 1-line block ×4, first 2 shown]
	scratch_load_dwordx4 v[62:65], off, off offset:832 ; 16-byte Folded Reload
	scratch_load_dwordx4 v[4:7], off, off offset:32 ; 16-byte Folded Reload
	;; [unrolled: 1-line block ×3, first 2 shown]
	s_waitcnt vmcnt(2)
	v_fmac_f64_e32 v[52:53], v[12:13], v[62:63]
	s_waitcnt vmcnt(1)
	v_fmac_f64_e32 v[78:79], v[4:5], v[62:63]
	v_fmac_f64_e32 v[38:39], v[6:7], v[62:63]
	scratch_load_dwordx4 v[4:7], off, off offset:16 ; 16-byte Folded Reload
	s_waitcnt vmcnt(1)
	v_fmac_f64_e32 v[78:79], v[8:9], v[64:65]
	v_fmac_f64_e32 v[38:39], v[10:11], v[64:65]
	scratch_load_dwordx4 v[8:11], off, off offset:48 ; 16-byte Folded Reload
	v_fmac_f64_e32 v[30:31], v[14:15], v[62:63]
	v_fmac_f64_e32 v[52:53], v[100:101], v[64:65]
	;; [unrolled: 1-line block ×3, first 2 shown]
	s_waitcnt vmcnt(1)
	v_fmac_f64_e32 v[112:113], v[4:5], v[62:63]
	v_fmac_f64_e32 v[60:61], v[6:7], v[62:63]
	s_waitcnt vmcnt(0)
	v_fmac_f64_e32 v[112:113], v[8:9], v[64:65]
	scratch_load_dwordx4 v[6:9], off, off offset:80 ; 16-byte Folded Reload
	v_fmac_f64_e32 v[60:61], v[10:11], v[64:65]
	s_waitcnt vmcnt(0)
	v_fmac_f64_e32 v[106:107], v[6:7], v[62:63]
	scratch_load_dwordx4 v[4:7], off, off offset:144 ; 16-byte Folded Reload
	v_fmac_f64_e32 v[82:83], v[8:9], v[62:63]
	s_waitcnt vmcnt(0)
	v_fmac_f64_e32 v[106:107], v[4:5], v[64:65]
	v_fmac_f64_e32 v[82:83], v[6:7], v[64:65]
	scratch_load_dwordx4 v[10:13], off, off offset:960 ; 16-byte Folded Reload
	scratch_load_dwordx4 v[4:7], off, off offset:160 ; 16-byte Folded Reload
	;; [unrolled: 1-line block ×3, first 2 shown]
	s_waitcnt vmcnt(2)
	v_fmac_f64_e32 v[112:113], v[108:109], v[10:11]
	s_waitcnt vmcnt(1)
	v_fmac_f64_e32 v[78:79], v[4:5], v[10:11]
	v_fmac_f64_e32 v[38:39], v[6:7], v[10:11]
	scratch_load_dwordx4 v[4:7], off, off offset:96 ; 16-byte Folded Reload
	v_fmac_f64_e32 v[60:61], v[110:111], v[10:11]
	v_fmac_f64_e32 v[82:83], v[94:95], v[10:11]
	;; [unrolled: 1-line block ×5, first 2 shown]
	s_waitcnt vmcnt(1)
	v_fmac_f64_e32 v[78:79], v[14:15], v[12:13]
	v_fmac_f64_e32 v[38:39], v[16:17], v[12:13]
	;; [unrolled: 1-line block ×4, first 2 shown]
	v_mov_b64_e32 v[22:23], v[2:3]
	v_mov_b64_e32 v[20:21], v[0:1]
	s_waitcnt vmcnt(0)
	v_fmac_f64_e32 v[112:113], v[4:5], v[12:13]
	v_fmac_f64_e32 v[60:61], v[6:7], v[12:13]
	scratch_load_dwordx4 v[4:7], off, off offset:288 ; 16-byte Folded Reload
	s_waitcnt vmcnt(0)
	v_fmac_f64_e32 v[82:83], v[6:7], v[12:13]
	scratch_load_dwordx4 v[6:9], off, off offset:656 ; 16-byte Folded Reload
	v_fmac_f64_e32 v[106:107], v[4:5], v[12:13]
	scratch_load_dwordx4 v[12:15], off, off offset:416 ; 16-byte Folded Reload
	s_waitcnt vmcnt(1)
	v_fma_f64 v[114:115], v[66:67], v[6:7], 0
	v_fmac_f64_e32 v[114:115], v[42:43], v[8:9]
	v_fma_f64 v[42:43], v[68:69], v[6:7], 0
	scratch_load_dwordx4 v[66:69], off, off offset:320 ; 16-byte Folded Reload
	s_waitcnt vmcnt(1)
	v_fma_f64 v[36:37], v[12:13], v[6:7], 0
	scratch_load_dwordx4 v[10:13], off, off offset:240 ; 16-byte Folded Reload
	v_fmac_f64_e32 v[42:43], v[44:45], v[8:9]
	v_mov_b64_e32 v[44:45], v[74:75]
	v_fma_f64 v[80:81], v[48:49], v[6:7], 0
	v_fma_f64 v[40:41], v[50:51], v[6:7], 0
	;; [unrolled: 1-line block ×4, first 2 shown]
	v_mov_b64_e32 v[46:47], v[76:77]
	v_fma_f64 v[4:5], v[14:15], v[6:7], 0
	scratch_load_dwordx4 v[14:17], off, off offset:640 ; 16-byte Folded Reload
	scratch_load_dwordx4 v[74:77], off, off offset:112 ; 16-byte Folded Reload
	v_fmac_f64_e32 v[80:81], v[84:85], v[8:9]
	v_fmac_f64_e32 v[40:41], v[86:87], v[8:9]
	s_waitcnt vmcnt(3)
	v_fmac_f64_e32 v[62:63], v[66:67], v[8:9]
	v_fmac_f64_e32 v[64:65], v[68:69], v[8:9]
	s_waitcnt vmcnt(2)
	v_fmac_f64_e32 v[36:37], v[10:11], v[8:9]
	v_fmac_f64_e32 v[4:5], v[12:13], v[8:9]
	scratch_load_dwordx4 v[6:9], off, off offset:368 ; 16-byte Folded Reload
	s_waitcnt vmcnt(2)
	v_fmac_f64_e32 v[62:63], v[70:71], v[14:15]
	s_waitcnt vmcnt(1)
	v_fmac_f64_e32 v[40:41], v[76:77], v[14:15]
	v_fmac_f64_e32 v[80:81], v[74:75], v[14:15]
	;; [unrolled: 1-line block ×5, first 2 shown]
	s_waitcnt vmcnt(0)
	v_fmac_f64_e32 v[40:41], v[8:9], v[16:17]
	scratch_load_dwordx4 v[8:11], off, off offset:208 ; 16-byte Folded Reload
	v_fmac_f64_e32 v[80:81], v[6:7], v[16:17]
	s_waitcnt vmcnt(0)
	v_fmac_f64_e32 v[114:115], v[8:9], v[14:15]
	scratch_load_dwordx4 v[6:9], off, off   ; 16-byte Folded Reload
	v_fmac_f64_e32 v[42:43], v[10:11], v[14:15]
	scratch_load_dwordx4 v[10:13], off, off offset:176 ; 16-byte Folded Reload
	s_waitcnt vmcnt(1)
	v_fmac_f64_e32 v[114:115], v[6:7], v[16:17]
	scratch_load_dwordx4 v[6:9], off, off   ; 16-byte Folded Reload
	s_waitcnt vmcnt(0)
	v_fmac_f64_e32 v[42:43], v[8:9], v[16:17]
	scratch_load_dwordx4 v[6:9], off, off offset:304 ; 16-byte Folded Reload
	s_waitcnt vmcnt(0)
	v_fmac_f64_e32 v[36:37], v[6:7], v[14:15]
	v_fmac_f64_e32 v[4:5], v[8:9], v[14:15]
	scratch_load_dwordx4 v[70:73], off, off offset:624 ; 16-byte Folded Reload
	scratch_load_dwordx4 v[6:9], off, off offset:32 ; 16-byte Folded Reload
	v_fmac_f64_e32 v[36:37], v[10:11], v[16:17]
	v_fmac_f64_e32 v[4:5], v[12:13], v[16:17]
	scratch_load_dwordx4 v[10:13], off, off offset:64 ; 16-byte Folded Reload
	scratch_load_dwordx4 v[14:17], off, off offset:80 ; 16-byte Folded Reload
	s_waitcnt vmcnt(2)
	v_fmac_f64_e32 v[80:81], v[6:7], v[70:71]
	v_fmac_f64_e32 v[40:41], v[8:9], v[70:71]
	scratch_load_dwordx4 v[6:9], off, off offset:16 ; 16-byte Folded Reload
	s_waitcnt vmcnt(2)
	v_fmac_f64_e32 v[80:81], v[10:11], v[72:73]
	v_fmac_f64_e32 v[40:41], v[12:13], v[72:73]
	;; [unrolled: 4-line block ×3, first 2 shown]
	s_waitcnt vmcnt(1)
	v_fmac_f64_e32 v[114:115], v[6:7], v[70:71]
	v_fmac_f64_e32 v[42:43], v[8:9], v[70:71]
	scratch_load_dwordx4 v[6:9], off, off offset:144 ; 16-byte Folded Reload
	s_waitcnt vmcnt(1)
	v_fmac_f64_e32 v[114:115], v[10:11], v[72:73]
	v_fmac_f64_e32 v[42:43], v[12:13], v[72:73]
	s_waitcnt vmcnt(0)
	v_fmac_f64_e32 v[62:63], v[6:7], v[72:73]
	v_fmac_f64_e32 v[64:65], v[8:9], v[72:73]
	scratch_load_dwordx4 v[6:9], off, off offset:128 ; 16-byte Folded Reload
	s_waitcnt vmcnt(0)
	v_fmac_f64_e32 v[36:37], v[6:7], v[70:71]
	v_fmac_f64_e32 v[4:5], v[8:9], v[70:71]
	scratch_load_dwordx4 v[10:13], off, off offset:608 ; 16-byte Folded Reload
	scratch_load_dwordx4 v[6:9], off, off offset:160 ; 16-byte Folded Reload
	;; [unrolled: 1-line block ×3, first 2 shown]
	v_fmac_f64_e32 v[4:5], v[102:103], v[72:73]
	v_fmac_f64_e32 v[36:37], v[100:101], v[72:73]
	s_waitcnt vmcnt(2)
	v_fmac_f64_e32 v[114:115], v[108:109], v[10:11]
	s_waitcnt vmcnt(1)
	v_fmac_f64_e32 v[80:81], v[6:7], v[10:11]
	v_fmac_f64_e32 v[40:41], v[8:9], v[10:11]
	s_waitcnt vmcnt(0)
	v_fmac_f64_e32 v[80:81], v[0:1], v[12:13]
	v_fmac_f64_e32 v[40:41], v[2:3], v[12:13]
	scratch_load_dwordx4 v[0:3], off, off offset:96 ; 16-byte Folded Reload
	scratch_load_dwordx4 v[6:9], off, off offset:496 ; 16-byte Folded Reload
	v_fmac_f64_e32 v[42:43], v[110:111], v[10:11]
	v_fmac_f64_e32 v[62:63], v[92:93], v[10:11]
	;; [unrolled: 1-line block ×5, first 2 shown]
	s_waitcnt vmcnt(1)
	v_fmac_f64_e32 v[114:115], v[0:1], v[12:13]
	v_fmac_f64_e32 v[42:43], v[2:3], v[12:13]
	scratch_load_dwordx4 v[0:3], off, off offset:288 ; 16-byte Folded Reload
	s_waitcnt vmcnt(1)
	v_fma_f64 v[96:97], v[48:49], v[6:7], 0
	v_fma_f64 v[58:59], v[50:51], v[6:7], 0
	v_fmac_f64_e32 v[96:97], v[84:85], v[8:9]
	v_fmac_f64_e32 v[58:59], v[86:87], v[8:9]
	s_waitcnt vmcnt(0)
	v_fmac_f64_e32 v[62:63], v[0:1], v[12:13]
	v_fmac_f64_e32 v[64:65], v[2:3], v[12:13]
	scratch_load_dwordx4 v[0:3], off, off offset:272 ; 16-byte Folded Reload
	s_waitcnt vmcnt(0)
	v_fmac_f64_e32 v[4:5], v[2:3], v[12:13]
	scratch_store_dwordx2 off, v[4:5], off offset:1464 ; 8-byte Folded Spill
	scratch_load_dwordx4 v[2:5], off, off offset:224 ; 16-byte Folded Reload
	v_fmac_f64_e32 v[36:37], v[0:1], v[12:13]
	s_waitcnt vmcnt(0)
	v_fma_f64 v[70:71], v[2:3], v[6:7], 0
	scratch_load_dwordx4 v[0:3], off, off offset:192 ; 16-byte Folded Reload
	v_fma_f64 v[72:73], v[4:5], v[6:7], 0
	v_fma_f64 v[4:5], v[44:45], v[6:7], 0
	v_fmac_f64_e32 v[4:5], v[66:67], v[8:9]
	s_waitcnt vmcnt(0)
	v_fmac_f64_e32 v[72:73], v[2:3], v[8:9]
	v_fma_f64 v[2:3], v[46:47], v[6:7], 0
	scratch_load_dwordx4 v[84:87], off, off offset:64 ; 16-byte Folded Reload
	scratch_load_dwordx4 v[44:47], off, off offset:48 ; 16-byte Folded Reload
	;; [unrolled: 1-line block ×4, first 2 shown]
	v_fmac_f64_e32 v[70:71], v[0:1], v[8:9]
	v_fmac_f64_e32 v[2:3], v[68:69], v[8:9]
	s_waitcnt vmcnt(1)
	v_fma_f64 v[88:89], v[48:49], v[6:7], 0
	v_fma_f64 v[0:1], v[50:51], v[6:7], 0
	s_waitcnt vmcnt(0)
	v_fmac_f64_e32 v[88:89], v[10:11], v[8:9]
	v_fmac_f64_e32 v[0:1], v[12:13], v[8:9]
	v_mov_b64_e32 v[6:7], v[14:15]
	v_mov_b64_e32 v[8:9], v[16:17]
	scratch_load_dwordx4 v[14:17], off, off offset:720 ; 16-byte Folded Reload
	scratch_load_dwordx4 v[10:13], off, off offset:368 ; 16-byte Folded Reload
	s_waitcnt vmcnt(1)
	v_fmac_f64_e32 v[96:97], v[74:75], v[14:15]
	v_fmac_f64_e32 v[58:59], v[76:77], v[14:15]
	v_mov_b64_e32 v[74:75], v[92:93]
	s_waitcnt vmcnt(0)
	v_fmac_f64_e32 v[96:97], v[10:11], v[16:17]
	v_mov_b64_e32 v[76:77], v[94:95]
	v_fmac_f64_e32 v[58:59], v[12:13], v[16:17]
	scratch_load_dwordx4 v[92:95], off, off offset:32 ; 16-byte Folded Reload
	scratch_load_dwordx4 v[66:69], off, off offset:16 ; 16-byte Folded Reload
	scratch_load_dwordx4 v[10:13], off, off ; 16-byte Folded Reload
	scratch_load_dwordx4 v[48:51], off, off offset:208 ; 16-byte Folded Reload
	s_waitcnt vmcnt(0)
	v_fmac_f64_e32 v[70:71], v[48:49], v[14:15]
	v_fmac_f64_e32 v[72:73], v[50:51], v[14:15]
	;; [unrolled: 1-line block ×4, first 2 shown]
	scratch_load_dwordx4 v[10:13], off, off offset:256 ; 16-byte Folded Reload
	s_waitcnt vmcnt(0)
	v_fmac_f64_e32 v[4:5], v[10:11], v[14:15]
	v_fmac_f64_e32 v[4:5], v[20:21], v[16:17]
	;; [unrolled: 1-line block ×3, first 2 shown]
	scratch_load_dwordx4 v[10:13], off, off offset:304 ; 16-byte Folded Reload
	scratch_load_dwordx4 v[18:21], off, off offset:176 ; 16-byte Folded Reload
	v_fmac_f64_e32 v[2:3], v[22:23], v[16:17]
	s_waitcnt vmcnt(1)
	v_fmac_f64_e32 v[88:89], v[10:11], v[14:15]
	v_fmac_f64_e32 v[0:1], v[12:13], v[14:15]
	s_waitcnt vmcnt(0)
	v_mov_b64_e32 v[10:11], v[18:19]
	v_mov_b64_e32 v[12:13], v[20:21]
	v_fmac_f64_e32 v[88:89], v[18:19], v[16:17]
	scratch_load_dwordx2 v[18:19], off, off offset:1360 ; 8-byte Folded Reload
	scratch_load_dwordx2 v[14:15], off, off offset:1352 ; 8-byte Folded Reload
	v_fmac_f64_e32 v[0:1], v[12:13], v[16:17]
	scratch_load_dwordx4 v[10:13], off, off offset:944 ; 16-byte Folded Reload
	scratch_load_dwordx4 v[20:23], off, off offset:144 ; 16-byte Folded Reload
	s_waitcnt vmcnt(1)
	v_fmac_f64_e32 v[4:5], v[6:7], v[10:11]
	v_fmac_f64_e32 v[2:3], v[8:9], v[10:11]
	scratch_load_dwordx4 v[6:9], off, off offset:128 ; 16-byte Folded Reload
	v_fmac_f64_e32 v[96:97], v[92:93], v[10:11]
	v_fmac_f64_e32 v[58:59], v[94:95], v[10:11]
	;; [unrolled: 1-line block ×7, first 2 shown]
	v_mov_b64_e32 v[44:45], v[24:25]
	v_fmac_f64_e32 v[72:73], v[46:47], v[12:13]
	s_waitcnt vmcnt(1)
	v_fmac_f64_e32 v[4:5], v[20:21], v[12:13]
	v_fmac_f64_e32 v[2:3], v[22:23], v[12:13]
	scratch_load_dwordx2 v[46:47], off, off offset:1416 ; 8-byte Folded Reload
	v_mov_b64_e32 v[48:49], v[2:3]
	v_mov_b64_e32 v[2:3], v[118:119]
	;; [unrolled: 1-line block ×4, first 2 shown]
	s_waitcnt vmcnt(1)
	v_fmac_f64_e32 v[88:89], v[6:7], v[10:11]
	v_fmac_f64_e32 v[0:1], v[8:9], v[10:11]
	;; [unrolled: 1-line block ×4, first 2 shown]
	scratch_load_dwordx2 v[102:103], off, off offset:1392 ; 8-byte Folded Reload
	scratch_load_dwordx4 v[10:13], off, off offset:272 ; 16-byte Folded Reload
	scratch_load_dwordx2 v[92:93], off, off offset:1368 ; 8-byte Folded Reload
	scratch_load_dwordx4 v[6:9], off, off offset:928 ; 16-byte Folded Reload
	scratch_load_dwordx4 v[22:25], off, off offset:160 ; 16-byte Folded Reload
	v_mov_b64_e32 v[100:101], v[26:27]
	scratch_store_dwordx2 off, v[2:3], off offset:1512 ; 8-byte Folded Spill
	v_mov_b64_e32 v[26:27], v[118:119]
	s_waitcnt vmcnt(2)
	v_fmac_f64_e32 v[70:71], v[108:109], v[6:7]
	s_waitcnt vmcnt(1)
	v_fmac_f64_e32 v[96:97], v[22:23], v[6:7]
	scratch_load_dwordx4 v[20:23], off, off offset:400 ; 16-byte Folded Reload
	scratch_load_dwordx2 v[108:109], off, off offset:1408 ; 8-byte Folded Reload
	v_fmac_f64_e32 v[58:59], v[24:25], v[6:7]
	v_fmac_f64_e32 v[0:1], v[124:125], v[6:7]
	;; [unrolled: 1-line block ×4, first 2 shown]
	scratch_store_dwordx2 off, v[0:1], off offset:1472 ; 8-byte Folded Spill
	scratch_load_dwordx2 v[110:111], off, off offset:1400 ; 8-byte Folded Reload
	v_fmac_f64_e32 v[4:5], v[74:75], v[6:7]
	v_mov_b64_e32 v[74:75], v[28:29]
	v_fmac_f64_e32 v[48:49], v[76:77], v[6:7]
	scratch_load_dwordx2 v[28:29], off, off offset:1344 ; 8-byte Folded Reload
	v_fmac_f64_e32 v[88:89], v[122:123], v[6:7]
	v_mov_b64_e32 v[124:125], v[18:19]
	v_fmac_f64_e32 v[88:89], v[10:11], v[8:9]
	v_mov_b64_e32 v[0:1], v[46:47]
	v_mov_b64_e32 v[18:19], v[102:103]
	;; [unrolled: 1-line block ×3, first 2 shown]
	s_waitcnt vmcnt(4)
	v_fmac_f64_e32 v[96:97], v[20:21], v[8:9]
	v_fmac_f64_e32 v[58:59], v[22:23], v[8:9]
	scratch_load_dwordx4 v[20:23], off, off offset:96 ; 16-byte Folded Reload
	s_waitcnt vmcnt(0)
	v_fmac_f64_e32 v[70:71], v[20:21], v[8:9]
	v_fmac_f64_e32 v[72:73], v[22:23], v[8:9]
	scratch_load_dwordx4 v[20:23], off, off offset:288 ; 16-byte Folded Reload
	scratch_load_dwordx2 v[118:119], off, off offset:1440 ; 8-byte Folded Reload
	scratch_load_dwordx2 v[94:95], off, off offset:1424 ; 8-byte Folded Reload
	;; [unrolled: 1-line block ×5, first 2 shown]
	s_waitcnt vmcnt(5)
	v_fmac_f64_e32 v[4:5], v[20:21], v[8:9]
	v_mov_b64_e32 v[66:67], v[4:5]
	v_fmac_f64_e32 v[48:49], v[22:23], v[8:9]
	v_mov_b64_e32 v[20:21], v[108:109]
	v_mov_b64_e32 v[22:23], v[92:93]
	s_cbranch_vccnz .LBB0_31
; %bb.30:                               ;   in Loop: Header=BB0_21 Depth=1
	v_mov_b64_e32 v[122:123], v[14:15]
	scratch_load_dwordx4 v[2:5], off, off offset:1280 ; 16-byte Folded Reload
	scratch_load_dwordx4 v[6:9], off, off offset:1296 ; 16-byte Folded Reload
	;; [unrolled: 1-line block ×4, first 2 shown]
	scratch_load_dwordx2 v[18:19], off, off offset:1608 ; 8-byte Folded Reload
	v_mov_b64_e32 v[50:51], v[28:29]
	scratch_load_dwordx2 v[22:23], off, off offset:1592 ; 8-byte Folded Reload
	scratch_load_dwordx2 v[24:25], off, off offset:1568 ; 8-byte Folded Reload
	;; [unrolled: 1-line block ×3, first 2 shown]
	s_waitcnt vmcnt(7)
	v_fma_f64 v[0:1], v[2:3], v[46:47], 0
	s_waitcnt vmcnt(3)
	v_fmac_f64_e32 v[0:1], v[4:5], v[18:19]
	scratch_load_dwordx2 v[18:19], off, off offset:1616 ; 8-byte Folded Reload
	v_fma_f64 v[20:21], v[2:3], v[108:109], 0
	v_fmac_f64_e32 v[20:21], v[4:5], v[84:85]
	v_fma_f64 v[30:31], v[2:3], v[122:123], 0
	v_fmac_f64_e32 v[30:31], v[4:5], v[68:69]
	v_fmac_f64_e32 v[30:31], v[6:7], v[76:77]
	v_fma_f64 v[28:29], v[2:3], v[50:51], 0
	s_waitcnt vmcnt(0)
	v_fmac_f64_e32 v[0:1], v[6:7], v[18:19]
	scratch_load_dwordx2 v[18:19], off, off offset:1600 ; 8-byte Folded Reload
	v_fmac_f64_e32 v[0:1], v[8:9], v[44:45]
	v_fmac_f64_e32 v[0:1], v[10:11], v[118:119]
	;; [unrolled: 1-line block ×5, first 2 shown]
	s_waitcnt vmcnt(0)
	v_fmac_f64_e32 v[20:21], v[6:7], v[18:19]
	v_fma_f64 v[18:19], v[2:3], v[102:103], 0
	v_fmac_f64_e32 v[18:19], v[4:5], v[94:95]
	v_fmac_f64_e32 v[18:19], v[6:7], v[22:23]
	v_fma_f64 v[22:23], v[2:3], v[92:93], 0
	v_fmac_f64_e32 v[22:23], v[4:5], v[24:25]
	scratch_load_dwordx2 v[24:25], off, off offset:1576 ; 8-byte Folded Reload
	v_fmac_f64_e32 v[20:21], v[8:9], v[54:55]
	v_fmac_f64_e32 v[18:19], v[8:9], v[100:101]
	;; [unrolled: 1-line block ×10, first 2 shown]
	s_waitcnt vmcnt(0)
	v_fmac_f64_e32 v[22:23], v[6:7], v[24:25]
	scratch_load_dwordx2 v[24:25], off, off offset:1584 ; 8-byte Folded Reload
	s_waitcnt vmcnt(0)
	v_fmac_f64_e32 v[22:23], v[8:9], v[24:25]
	v_fma_f64 v[24:25], v[2:3], v[124:125], 0
	v_fmac_f64_e32 v[24:25], v[4:5], v[26:27]
	scratch_load_dwordx2 v[26:27], off, off offset:1560 ; 8-byte Folded Reload
	v_fmac_f64_e32 v[22:23], v[10:11], v[126:127]
	v_fmac_f64_e32 v[22:23], v[12:13], v[60:61]
	;; [unrolled: 1-line block ×4, first 2 shown]
	s_waitcnt vmcnt(0)
	v_fmac_f64_e32 v[24:25], v[6:7], v[26:27]
	scratch_load_dwordx2 v[26:27], off, off offset:1520 ; 8-byte Folded Reload
	v_fmac_f64_e32 v[24:25], v[8:9], v[98:99]
	v_fmac_f64_e32 v[24:25], v[10:11], v[104:105]
	;; [unrolled: 1-line block ×5, first 2 shown]
	s_waitcnt vmcnt(0)
	v_fmac_f64_e32 v[30:31], v[8:9], v[26:27]
	scratch_load_dwordx2 v[26:27], off, off offset:1496 ; 8-byte Folded Reload
	v_fmac_f64_e32 v[30:31], v[10:11], v[110:111]
	v_fmac_f64_e32 v[30:31], v[12:13], v[82:83]
	;; [unrolled: 1-line block ×4, first 2 shown]
	s_waitcnt vmcnt(0)
	v_fmac_f64_e32 v[28:29], v[4:5], v[26:27]
	scratch_load_dwordx2 v[26:27], off, off offset:1504 ; 8-byte Folded Reload
	s_waitcnt vmcnt(0)
	v_fmac_f64_e32 v[28:29], v[6:7], v[26:27]
	scratch_load_dwordx2 v[26:27], off, off offset:1512 ; 8-byte Folded Reload
	v_fmac_f64_e32 v[28:29], v[8:9], v[116:117]
	v_fmac_f64_e32 v[28:29], v[10:11], v[120:121]
	;; [unrolled: 1-line block ×5, first 2 shown]
	s_waitcnt vmcnt(0)
	v_fma_f64 v[26:27], v[2:3], v[26:27], 0
	scratch_load_dwordx2 v[2:3], off, off offset:1488 ; 8-byte Folded Reload
	s_waitcnt vmcnt(0)
	v_fmac_f64_e32 v[26:27], v[4:5], v[2:3]
	scratch_load_dwordx2 v[2:3], off, off offset:1480 ; 8-byte Folded Reload
	s_waitcnt vmcnt(0)
	v_fmac_f64_e32 v[26:27], v[6:7], v[2:3]
	v_fmac_f64_e32 v[26:27], v[8:9], v[74:75]
	;; [unrolled: 1-line block ×4, first 2 shown]
	scratch_load_dwordx4 v[10:13], off, off offset:272 ; 16-byte Folded Reload
	scratch_load_dwordx2 v[2:3], off, off offset:1464 ; 8-byte Folded Reload
	s_waitcnt vmcnt(0)
	v_fmac_f64_e32 v[26:27], v[14:15], v[2:3]
	scratch_load_dwordx2 v[2:3], off, off offset:1472 ; 8-byte Folded Reload
	s_waitcnt vmcnt(0)
	v_fmac_f64_e32 v[26:27], v[16:17], v[2:3]
.LBB0_31:                               ;   in Loop: Header=BB0_21 Depth=1
	scratch_store_dwordx2 off, v[96:97], off offset:2008 ; 8-byte Folded Spill
	scratch_store_dwordx2 off, v[80:81], off offset:2000 ; 8-byte Folded Spill
	;; [unrolled: 1-line block ×34, first 2 shown]
	v_div_scale_f64 v[34:35], s[16:17], v[32:33], v[32:33], 1.0
	v_rcp_f64_e32 v[36:37], v[34:35]
	s_nop 0
	v_fma_f64 v[38:39], -v[34:35], v[36:37], 1.0
	v_fmac_f64_e32 v[36:37], v[36:37], v[38:39]
	v_fma_f64 v[38:39], -v[34:35], v[36:37], 1.0
	v_fmac_f64_e32 v[36:37], v[36:37], v[38:39]
	v_div_scale_f64 v[38:39], vcc, 1.0, v[32:33], 1.0
	v_mul_f64 v[40:41], v[38:39], v[36:37]
	v_fma_f64 v[34:35], -v[34:35], v[40:41], v[38:39]
	s_nop 1
	v_div_fmas_f64 v[34:35], v[34:35], v[36:37], v[40:41]
	v_div_fixup_f64 v[32:33], v[34:35], v[32:33], 1.0
	v_mul_f64 v[0:1], v[32:33], v[0:1]
	v_mul_f64 v[2:3], v[32:33], v[26:27]
	;; [unrolled: 1-line block ×8, first 2 shown]
	scratch_store_dwordx2 off, v[0:1], off offset:1672 ; 8-byte Folded Spill
	scratch_store_dwordx2 off, v[0:1], off offset:720 ; 8-byte Folded Spill
	;; [unrolled: 1-line block ×16, first 2 shown]
	scratch_load_dwordx4 v[18:21], off, off offset:384 ; 16-byte Folded Reload
	scratch_load_dwordx4 v[22:25], off, off offset:368 ; 16-byte Folded Reload
	;; [unrolled: 1-line block ×10, first 2 shown]
	scratch_load_dwordx4 v[96:99], off, off ; 16-byte Folded Reload
	scratch_load_dwordx4 v[92:95], off, off offset:16 ; 16-byte Folded Reload
	scratch_load_dwordx4 v[62:65], off, off offset:464 ; 16-byte Folded Reload
	;; [unrolled: 1-line block ×13, first 2 shown]
	s_and_b64 vcc, exec, s[2:3]
	scratch_load_dwordx4 v[46:49], off, off offset:288 ; 16-byte Folded Reload
	s_waitcnt vmcnt(24)
	v_mov_b64_e32 v[0:1], v[18:19]
	scratch_store_dwordx2 off, v[0:1], off offset:1032 ; 8-byte Folded Spill
	v_mov_b64_e32 v[0:1], v[20:21]
	scratch_store_dwordx2 off, v[0:1], off offset:1248 ; 8-byte Folded Spill
	s_waitcnt vmcnt(24)
	v_mov_b64_e32 v[0:1], v[74:75]
	scratch_store_dwordx2 off, v[0:1], off offset:1168 ; 8-byte Folded Spill
	v_mov_b64_e32 v[0:1], v[76:77]
	scratch_store_dwordx2 off, v[0:1], off offset:864 ; 8-byte Folded Spill
	s_waitcnt vmcnt(24)
	v_mov_b64_e32 v[0:1], v[70:71]
	scratch_store_dwordx2 off, v[0:1], off offset:816 ; 8-byte Folded Spill
	s_waitcnt vmcnt(23)
	;; [unrolled: 3-line block ×3, first 2 shown]
	v_mov_b64_e32 v[0:1], v[50:51]
	scratch_store_dwordx2 off, v[0:1], off offset:640 ; 8-byte Folded Spill
	v_mov_b64_e32 v[0:1], v[52:53]
	scratch_store_dwordx2 off, v[0:1], off offset:1008 ; 8-byte Folded Spill
	;; [unrolled: 2-line block ×6, first 2 shown]
	scratch_load_dwordx4 v[0:3], off, off offset:304 ; 16-byte Folded Reload
	v_mov_b64_e32 v[126:127], v[72:73]
	v_mov_b64_e32 v[40:41], v[60:61]
	s_waitcnt vmcnt(17)
	v_mov_b64_e32 v[8:9], v[44:45]
	s_waitcnt vmcnt(0)
	v_mov_b64_e32 v[16:17], v[0:1]
	v_mov_b64_e32 v[0:1], v[22:23]
	scratch_store_dwordx2 off, v[0:1], off offset:656 ; 8-byte Folded Spill
	v_mov_b64_e32 v[0:1], v[24:25]
	scratch_store_dwordx2 off, v[0:1], off offset:1184 ; 8-byte Folded Spill
	v_mov_b64_e32 v[0:1], v[96:97]
	scratch_store_dwordx2 off, v[0:1], off offset:960 ; 8-byte Folded Spill
	v_mov_b64_e32 v[0:1], v[98:99]
	scratch_store_dwordx2 off, v[0:1], off offset:896 ; 8-byte Folded Spill
	v_mov_b64_e32 v[0:1], v[62:63]
	scratch_store_dwordx2 off, v[0:1], off offset:1136 ; 8-byte Folded Spill
	v_mov_b64_e32 v[0:1], v[64:65]
	scratch_store_dwordx2 off, v[0:1], off offset:784 ; 8-byte Folded Spill
	v_mov_b64_e32 v[0:1], v[112:113]
	scratch_store_dwordx2 off, v[0:1], off offset:672 ; 8-byte Folded Spill
	v_mov_b64_e32 v[0:1], v[114:115]
	scratch_store_dwordx2 off, v[0:1], off offset:1192 ; 8-byte Folded Spill
	v_mov_b64_e32 v[0:1], v[92:93]
	scratch_store_dwordx2 off, v[0:1], off offset:976 ; 8-byte Folded Spill
	v_mov_b64_e32 v[0:1], v[94:95]
	scratch_store_dwordx2 off, v[0:1], off offset:1552 ; 8-byte Folded Spill
	v_mov_b64_e32 v[0:1], v[100:101]
	scratch_store_dwordx2 off, v[0:1], off offset:1144 ; 8-byte Folded Spill
	v_mov_b64_e32 v[0:1], v[102:103]
	scratch_store_dwordx2 off, v[0:1], off offset:832 ; 8-byte Folded Spill
	v_mov_b64_e32 v[0:1], v[26:27]
	scratch_store_dwordx2 off, v[0:1], off offset:736 ; 8-byte Folded Spill
	v_mov_b64_e32 v[0:1], v[28:29]
	scratch_store_dwordx2 off, v[0:1], off offset:592 ; 8-byte Folded Spill
	v_mov_b64_e32 v[0:1], v[66:67]
	scratch_store_dwordx2 off, v[0:1], off offset:1232 ; 8-byte Folded Spill
	v_mov_b64_e32 v[0:1], v[68:69]
	scratch_store_dwordx2 off, v[0:1], off offset:1208 ; 8-byte Folded Spill
	v_mov_b64_e32 v[0:1], v[78:79]
	scratch_store_dwordx2 off, v[0:1], off offset:1024 ; 8-byte Folded Spill
	v_mov_b64_e32 v[0:1], v[80:81]
	scratch_store_dwordx2 off, v[0:1], off offset:944 ; 8-byte Folded Spill
	v_mov_b64_e32 v[0:1], v[82:83]
	scratch_store_dwordx2 off, v[0:1], off offset:1152 ; 8-byte Folded Spill
	v_mov_b64_e32 v[0:1], v[84:85]
	scratch_store_dwordx2 off, v[0:1], off offset:1536 ; 8-byte Folded Spill
	v_mov_b64_e32 v[0:1], v[42:43]
	scratch_store_dwordx2 off, v[0:1], off offset:768 ; 8-byte Folded Spill
	v_mov_b64_e32 v[0:1], v[86:87]
	scratch_store_dwordx2 off, v[0:1], off offset:1240 ; 8-byte Folded Spill
	v_mov_b64_e32 v[0:1], v[88:89]
	scratch_store_dwordx2 off, v[0:1], off offset:1216 ; 8-byte Folded Spill
	v_mov_b64_e32 v[0:1], v[108:109]
	scratch_store_dwordx2 off, v[0:1], off offset:624 ; 8-byte Folded Spill
	v_mov_b64_e32 v[0:1], v[110:111]
	scratch_store_dwordx2 off, v[0:1], off offset:1176 ; 8-byte Folded Spill
	v_mov_b64_e32 v[0:1], v[116:117]
	scratch_store_dwordx2 off, v[0:1], off offset:1160 ; 8-byte Folded Spill
	v_mov_b64_e32 v[0:1], v[118:119]
	scratch_store_dwordx2 off, v[0:1], off offset:848 ; 8-byte Folded Spill
	v_mov_b64_e32 v[0:1], v[122:123]
	scratch_store_dwordx2 off, v[0:1], off offset:800 ; 8-byte Folded Spill
	v_mov_b64_e32 v[0:1], v[124:125]
	scratch_store_dwordx2 off, v[0:1], off offset:1120 ; 8-byte Folded Spill
	v_mov_b64_e32 v[0:1], v[36:37]
	scratch_store_dwordx2 off, v[0:1], off offset:688 ; 8-byte Folded Spill
	v_mov_b64_e32 v[0:1], v[38:39]
	v_mov_b64_e32 v[4:5], v[2:3]
	scratch_store_dwordx2 off, v[0:1], off offset:1224 ; 8-byte Folded Spill
	scratch_load_dwordx4 v[0:3], off, off offset:96 ; 16-byte Folded Reload
	v_mov_b64_e32 v[30:31], v[54:55]
	v_mov_b64_e32 v[120:121], v[56:57]
	s_waitcnt vmcnt(0)
	v_mov_b64_e32 v[6:7], v[0:1]
	v_mov_b64_e32 v[0:1], v[46:47]
	scratch_store_dwordx2 off, v[0:1], off offset:912 ; 8-byte Folded Spill
	v_mov_b64_e32 v[0:1], v[48:49]
	scratch_store_dwordx2 off, v[0:1], off offset:880 ; 8-byte Folded Spill
	;; [unrolled: 2-line block ×5, first 2 shown]
	s_cbranch_vccnz .LBB0_33
; %bb.32:                               ;   in Loop: Header=BB0_21 Depth=1
	scratch_load_dwordx4 v[0:3], off, off offset:1280 ; 16-byte Folded Reload
	scratch_load_dwordx4 v[4:7], off, off offset:1296 ; 16-byte Folded Reload
	;; [unrolled: 1-line block ×4, first 2 shown]
	scratch_load_dwordx2 v[30:31], off, off offset:1672 ; 8-byte Folded Reload
	scratch_load_dwordx2 v[120:121], off, off offset:560 ; 8-byte Folded Reload
	s_waitcnt vmcnt(1)
	v_fma_f64 v[40:41], -v[2:3], v[30:31], v[18:19]
	scratch_store_dwordx2 off, v[40:41], off offset:1032 ; 8-byte Folded Spill
	v_fma_f64 v[40:41], -v[4:5], v[30:31], v[50:51]
	scratch_store_dwordx2 off, v[40:41], off offset:640 ; 8-byte Folded Spill
	;; [unrolled: 2-line block ×5, first 2 shown]
	v_fma_f64 v[40:41], -v[12:13], v[30:31], v[86:87]
	v_mul_f64 v[16:17], v[0:1], v[30:31]
	scratch_store_dwordx2 off, v[40:41], off offset:1240 ; 8-byte Folded Spill
	v_fma_f64 v[40:41], -v[14:15], v[30:31], v[36:37]
	scratch_load_dwordx2 v[30:31], off, off offset:1656 ; 8-byte Folded Reload
	s_nop 0
	scratch_store_dwordx2 off, v[40:41], off offset:688 ; 8-byte Folded Spill
	scratch_store_dwordx2 off, v[16:17], off offset:720 ; 8-byte Folded Spill
	s_waitcnt vmcnt(2)
	v_fma_f64 v[40:41], -v[4:5], v[30:31], v[52:53]
	scratch_store_dwordx2 off, v[40:41], off offset:1008 ; 8-byte Folded Spill
	v_fma_f64 v[40:41], -v[6:7], v[30:31], v[24:25]
	scratch_store_dwordx2 off, v[40:41], off offset:1184 ; 8-byte Folded Spill
	;; [unrolled: 2-line block ×3, first 2 shown]
	v_fma_f64 v[40:41], -v[10:11], v[30:31], v[68:69]
	v_mul_f64 v[16:17], v[0:1], v[30:31]
	scratch_store_dwordx2 off, v[40:41], off offset:1208 ; 8-byte Folded Spill
	v_fma_f64 v[40:41], -v[12:13], v[30:31], v[88:89]
	scratch_store_dwordx2 off, v[16:17], off offset:576 ; 8-byte Folded Spill
	v_fma_f64 v[16:17], -v[2:3], v[30:31], v[20:21]
	;; [unrolled: 2-line block ×3, first 2 shown]
	scratch_load_dwordx2 v[30:31], off, off offset:1664 ; 8-byte Folded Reload
	s_nop 0
	scratch_store_dwordx2 off, v[40:41], off offset:1224 ; 8-byte Folded Spill
	scratch_store_dwordx2 off, v[16:17], off offset:1248 ; 8-byte Folded Spill
	s_waitcnt vmcnt(2)
	v_fma_f64 v[40:41], -v[2:3], v[30:31], v[74:75]
	scratch_store_dwordx2 off, v[40:41], off offset:1168 ; 8-byte Folded Spill
	v_fma_f64 v[40:41], -v[4:5], v[30:31], v[32:33]
	v_mul_f64 v[16:17], v[0:1], v[30:31]
	scratch_store_dwordx2 off, v[40:41], off offset:928 ; 8-byte Folded Spill
	v_fma_f64 v[40:41], -v[6:7], v[30:31], v[96:97]
	scratch_store_dwordx2 off, v[16:17], off offset:528 ; 8-byte Folded Spill
	scratch_store_dwordx2 off, v[40:41], off offset:960 ; 8-byte Folded Spill
	v_fma_f64 v[40:41], -v[8:9], v[30:31], v[92:93]
	scratch_load_dwordx4 v[90:93], off, off offset:96 ; 16-byte Folded Reload
	scratch_load_dwordx2 v[16:17], off, off offset:1640 ; 8-byte Folded Reload
	s_nop 0
	scratch_store_dwordx2 off, v[40:41], off offset:976 ; 8-byte Folded Spill
	v_fma_f64 v[40:41], -v[10:11], v[30:31], v[78:79]
	scratch_store_dwordx2 off, v[40:41], off offset:1024 ; 8-byte Folded Spill
	v_fma_f64 v[40:41], -v[12:13], v[30:31], v[108:109]
	scratch_store_dwordx2 off, v[40:41], off offset:624 ; 8-byte Folded Spill
	s_waitcnt vmcnt(4)
	v_fma_f64 v[40:41], -v[14:15], v[30:31], v[90:91]
	s_waitcnt vmcnt(3)
	v_mul_f64 v[30:31], v[0:1], v[16:17]
	scratch_store_dwordx2 off, v[30:31], off offset:1680 ; 8-byte Folded Spill
	scratch_load_dwordx2 v[30:31], off, off offset:1264 ; 8-byte Folded Reload
	s_nop 0
	scratch_store_dwordx2 off, v[40:41], off offset:1200 ; 8-byte Folded Spill
	v_fma_f64 v[40:41], -v[2:3], v[16:17], v[76:77]
	scratch_store_dwordx2 off, v[40:41], off offset:864 ; 8-byte Folded Spill
	v_fma_f64 v[40:41], -v[4:5], v[16:17], v[34:35]
	;; [unrolled: 2-line block ×7, first 2 shown]
	scratch_store_dwordx2 off, v[40:41], off offset:992 ; 8-byte Folded Spill
	scratch_load_dwordx4 v[90:93], off, off offset:272 ; 16-byte Folded Reload
	s_waitcnt vmcnt(9)
	v_fma_f64 v[40:41], -v[2:3], v[30:31], v[70:71]
	scratch_store_dwordx2 off, v[40:41], off offset:816 ; 8-byte Folded Spill
	v_fma_f64 v[40:41], -v[4:5], v[30:31], v[104:105]
	scratch_store_dwordx2 off, v[40:41], off offset:1128 ; 8-byte Folded Spill
	;; [unrolled: 2-line block ×5, first 2 shown]
	v_fma_f64 v[40:41], -v[12:13], v[30:31], v[116:117]
	v_mul_f64 v[16:17], v[0:1], v[30:31]
	scratch_store_dwordx2 off, v[40:41], off offset:1160 ; 8-byte Folded Spill
	v_fma_f64 v[40:41], -v[14:15], v[30:31], v[46:47]
	scratch_load_dwordx2 v[30:31], off, off offset:704 ; 8-byte Folded Reload
	s_waitcnt vmcnt(0)
	v_fma_f64 v[126:127], -v[2:3], v[30:31], v[72:73]
	scratch_store_dwordx2 off, v[40:41], off offset:912 ; 8-byte Folded Spill
	v_fma_f64 v[40:41], -v[4:5], v[30:31], v[106:107]
	scratch_store_dwordx2 off, v[40:41], off offset:752 ; 8-byte Folded Spill
	;; [unrolled: 2-line block ×5, first 2 shown]
	v_fma_f64 v[40:41], -v[12:13], v[30:31], v[118:119]
	scratch_load_dwordx4 v[116:119], off, off offset:304 ; 16-byte Folded Reload
	s_nop 0
	scratch_store_dwordx2 off, v[40:41], off offset:848 ; 8-byte Folded Spill
	v_fma_f64 v[40:41], -v[14:15], v[30:31], v[48:49]
	scratch_store_dwordx2 off, v[16:17], off offset:496 ; 8-byte Folded Spill
	v_mul_f64 v[16:17], v[0:1], v[30:31]
	scratch_store_dwordx2 off, v[40:41], off offset:880 ; 8-byte Folded Spill
	v_fma_f64 v[40:41], -v[8:9], v[120:121], v[26:27]
	scratch_store_dwordx2 off, v[16:17], off offset:1624 ; 8-byte Folded Spill
	v_mul_f64 v[16:17], v[0:1], v[120:121]
	scratch_store_dwordx2 off, v[40:41], off offset:736 ; 8-byte Folded Spill
	v_fma_f64 v[40:41], -v[10:11], v[120:121], v[42:43]
	scratch_store_dwordx2 off, v[16:17], off offset:1632 ; 8-byte Folded Spill
	v_fma_f64 v[16:17], -v[2:3], v[120:121], v[58:59]
	scratch_store_dwordx2 off, v[40:41], off offset:768 ; 8-byte Folded Spill
	v_fma_f64 v[40:41], -v[12:13], v[120:121], v[122:123]
	scratch_store_dwordx2 off, v[16:17], off offset:1040 ; 8-byte Folded Spill
	scratch_store_dwordx2 off, v[40:41], off offset:800 ; 8-byte Folded Spill
	v_fma_f64 v[30:31], -v[6:7], v[120:121], v[54:55]
	scratch_load_dwordx4 v[92:95], off, off offset:16 ; 16-byte Folded Reload
	scratch_load_dwordx4 v[54:57], off, off offset:176 ; 16-byte Folded Reload
	v_fma_f64 v[40:41], -v[14:15], v[120:121], v[90:91]
	scratch_load_dwordx2 v[90:91], off, off offset:512 ; 8-byte Folded Reload
	s_waitcnt vmcnt(12)
	v_fma_f64 v[16:17], -v[4:5], v[120:121], v[116:117]
	scratch_store_dwordx2 off, v[40:41], off offset:608 ; 8-byte Folded Spill
	s_waitcnt vmcnt(1)
	v_mul_f64 v[0:1], v[0:1], v[90:91]
	v_fma_f64 v[40:41], -v[2:3], v[90:91], v[60:61]
	v_fma_f64 v[4:5], -v[4:5], v[90:91], v[118:119]
	;; [unrolled: 1-line block ×3, first 2 shown]
	scratch_store_dwordx2 off, v[0:1], off offset:1648 ; 8-byte Folded Spill
	v_fma_f64 v[0:1], -v[8:9], v[90:91], v[28:29]
	v_fma_f64 v[8:9], -v[10:11], v[90:91], v[44:45]
	scratch_store_dwordx2 off, v[0:1], off offset:592 ; 8-byte Folded Spill
	v_fma_f64 v[0:1], -v[12:13], v[90:91], v[124:125]
	scratch_load_dwordx4 v[10:13], off, off offset:272 ; 16-byte Folded Reload
	s_nop 0
	scratch_store_dwordx2 off, v[0:1], off offset:1120 ; 8-byte Folded Spill
	s_waitcnt vmcnt(1)
	v_fma_f64 v[0:1], -v[14:15], v[90:91], v[12:13]
.LBB0_33:                               ;   in Loop: Header=BB0_21 Depth=1
	v_mov_b64_e32 v[118:119], v[44:45]
	v_mov_b64_e32 v[116:117], v[42:43]
	;; [unrolled: 1-line block ×11, first 2 shown]
	scratch_store_dwordx2 off, v[40:41], off offset:1456 ; 8-byte Folded Spill
	scratch_store_dwordx2 off, v[30:31], off offset:1272 ; 8-byte Folded Spill
	;; [unrolled: 1-line block ×6, first 2 shown]
	v_mov_b64_e32 v[0:1], v[22:23]
	v_mov_b64_e32 v[78:79], v[26:27]
	;; [unrolled: 1-line block ×21, first 2 shown]
	scratch_load_dwordx4 v[66:69], off, off offset:480 ; 16-byte Folded Reload
	scratch_load_dwordx4 v[0:3], off, off offset:1048 ; 16-byte Folded Reload
	;; [unrolled: 1-line block ×5, first 2 shown]
	v_mov_b64_e32 v[120:121], v[16:17]
	s_add_i32 s19, s19, 1
	s_cmp_eq_u32 s18, s19
	s_waitcnt vmcnt(3)
	v_fma_f64 v[32:33], v[0:1], v[66:67], 0
	v_fmac_f64_e32 v[32:33], v[2:3], v[18:19]
	s_waitcnt vmcnt(2)
	v_fmac_f64_e32 v[32:33], v[4:5], v[50:51]
	v_fmac_f64_e32 v[32:33], v[6:7], v[34:35]
	v_fma_f64 v[34:35], v[0:1], v[68:69], 0
	v_fmac_f64_e32 v[34:35], v[2:3], v[20:21]
	scratch_load_dwordx4 v[18:21], off, off offset:224 ; 16-byte Folded Reload
	v_fmac_f64_e32 v[34:35], v[4:5], v[52:53]
	v_fmac_f64_e32 v[34:35], v[6:7], v[36:37]
	s_waitcnt vmcnt(2)
	v_fmac_f64_e32 v[32:33], v[8:9], v[108:109]
	v_fmac_f64_e32 v[34:35], v[8:9], v[110:111]
	;; [unrolled: 1-line block ×4, first 2 shown]
	s_waitcnt vmcnt(1)
	v_fmac_f64_e32 v[32:33], v[12:13], v[86:87]
	v_fmac_f64_e32 v[34:35], v[12:13], v[88:89]
	v_fmac_f64_e32 v[32:33], v[14:15], v[22:23]
	v_fmac_f64_e32 v[34:35], v[14:15], v[24:25]
	scratch_load_dwordx4 v[22:25], off, off offset:96 ; 16-byte Folded Reload
	scratch_load_dwordx4 v[50:53], off, off offset:336 ; 16-byte Folded Reload
	s_waitcnt vmcnt(2)
	v_fma_f64 v[36:37], v[0:1], v[18:19], 0
	v_fmac_f64_e32 v[36:37], v[2:3], v[74:75]
	v_fmac_f64_e32 v[36:37], v[4:5], v[38:39]
	v_fma_f64 v[38:39], v[0:1], v[20:21], 0
	v_fmac_f64_e32 v[38:39], v[2:3], v[76:77]
	v_fmac_f64_e32 v[38:39], v[4:5], v[40:41]
	;; [unrolled: 1-line block ×10, first 2 shown]
	s_waitcnt vmcnt(1)
	v_fmac_f64_e32 v[36:37], v[14:15], v[22:23]
	v_fmac_f64_e32 v[38:39], v[14:15], v[24:25]
	scratch_load_dwordx4 v[22:25], off, off offset:304 ; 16-byte Folded Reload
	scratch_load_dwordx4 v[86:89], off, off offset:352 ; 16-byte Folded Reload
	s_waitcnt vmcnt(0)
	v_fma_f64 v[40:41], v[0:1], v[86:87], 0
	v_fma_f64 v[42:43], v[0:1], v[88:89], 0
	v_fmac_f64_e32 v[40:41], v[2:3], v[26:27]
	v_fmac_f64_e32 v[42:43], v[2:3], v[28:29]
	scratch_load_dwordx4 v[26:29], off, off offset:416 ; 16-byte Folded Reload
	v_fmac_f64_e32 v[40:41], v[4:5], v[104:105]
	v_fmac_f64_e32 v[42:43], v[4:5], v[106:107]
	;; [unrolled: 1-line block ×12, first 2 shown]
	v_mov_b64_e32 v[46:47], v[116:117]
	v_mov_b64_e32 v[48:49], v[118:119]
	scratch_load_dwordx4 v[116:119], off, off offset:272 ; 16-byte Folded Reload
	s_waitcnt vmcnt(1)
	v_fma_f64 v[44:45], v[0:1], v[26:27], 0
	v_fmac_f64_e32 v[44:45], v[2:3], v[122:123]
	v_fmac_f64_e32 v[44:45], v[4:5], v[22:23]
	;; [unrolled: 1-line block ×5, first 2 shown]
	v_fma_f64 v[46:47], v[0:1], v[28:29], 0
	v_fmac_f64_e32 v[46:47], v[2:3], v[124:125]
	scratch_load_dwordx2 v[0:1], off, off offset:1792 ; 8-byte Folded Reload
	scratch_load_dwordx2 v[2:3], off, off offset:1672 ; 8-byte Folded Reload
	v_fmac_f64_e32 v[44:45], v[12:13], v[70:71]
	v_fmac_f64_e32 v[46:47], v[4:5], v[24:25]
	v_fmac_f64_e32 v[46:47], v[6:7], v[56:57]
	v_fmac_f64_e32 v[46:47], v[8:9], v[80:81]
	v_fmac_f64_e32 v[46:47], v[10:11], v[48:49]
	v_fmac_f64_e32 v[46:47], v[12:13], v[72:73]
	s_waitcnt vmcnt(2)
	v_fmac_f64_e32 v[44:45], v[14:15], v[116:117]
	v_fmac_f64_e32 v[46:47], v[14:15], v[118:119]
	s_waitcnt vmcnt(0)
	v_fmac_f64_e32 v[32:33], v[0:1], v[2:3]
	scratch_load_dwordx2 v[2:3], off, off offset:1656 ; 8-byte Folded Reload
	s_waitcnt vmcnt(0)
	v_fmac_f64_e32 v[34:35], v[0:1], v[2:3]
	scratch_load_dwordx2 v[2:3], off, off offset:1664 ; 8-byte Folded Reload
	;; [unrolled: 3-line block ×7, first 2 shown]
	s_waitcnt vmcnt(0)
	v_fmac_f64_e32 v[46:47], v[0:1], v[2:3]
	s_set_gpr_idx_on s21, gpr_idx(SRC0)
	v_mov_b32_e32 v1, v33
	v_mov_b32_e32 v0, v32
	s_set_gpr_idx_off
	scratch_load_dwordx2 v[22:23], off, off offset:1688 ; 8-byte Folded Reload
	s_waitcnt vmcnt(0)
	v_add_f64 v[0:1], v[22:23], v[0:1]
	s_set_gpr_idx_on s21, gpr_idx(DST)
	v_mov_b32_e32 v32, v0
	v_mov_b32_e32 v33, v1
	s_set_gpr_idx_off
	scratch_store_dwordx4 off, v[32:35], off offset:1048 ; 16-byte Folded Spill
	s_nop 0
	scratch_store_dwordx4 off, v[36:39], off offset:1064 ; 16-byte Folded Spill
	scratch_store_dwordx4 off, v[40:43], off offset:1080 ; 16-byte Folded Spill
	;; [unrolled: 1-line block ×3, first 2 shown]
	scratch_load_dwordx2 v[0:1], off, off offset:1648 ; 8-byte Folded Reload
	scratch_load_dwordx2 v[2:3], off, off offset:1416 ; 8-byte Folded Reload
	s_waitcnt vmcnt(1)
	v_add_f64 v[102:103], v[28:29], -v[0:1]
	scratch_load_dwordx2 v[0:1], off, off offset:1632 ; 8-byte Folded Reload
	s_waitcnt vmcnt(0)
	v_add_f64 v[46:47], v[26:27], -v[0:1]
	;; [unrolled: 3-line block ×7, first 2 shown]
	scratch_load_dwordx2 v[0:1], off, off offset:720 ; 8-byte Folded Reload
	v_mov_b64_e32 v[112:113], v[12:13]
	scratch_store_dwordx2 off, v[102:103], off offset:1264 ; 8-byte Folded Spill
	scratch_store_dwordx2 off, v[46:47], off offset:704 ; 8-byte Folded Spill
	;; [unrolled: 1-line block ×6, first 2 shown]
	s_waitcnt vmcnt(6)
	v_add_f64 v[0:1], v[66:67], -v[0:1]
	v_mov_b64_e32 v[98:99], v[0:1]
	scratch_store_dwordx2 off, v[98:99], off offset:720 ; 8-byte Folded Spill
	v_fma_f64 v[16:17], v[2:3], v[0:1], 0
	scratch_load_dwordx2 v[92:93], off, off offset:1032 ; 8-byte Folded Reload
	scratch_load_dwordx2 v[22:23], off, off offset:1608 ; 8-byte Folded Reload
	;; [unrolled: 1-line block ×4, first 2 shown]
	s_waitcnt vmcnt(1)
	v_mov_b64_e32 v[80:81], v[0:1]
	v_fmac_f64_e32 v[16:17], v[22:23], v[92:93]
	scratch_store_dwordx2 off, v[80:81], off offset:640 ; 8-byte Folded Spill
	s_waitcnt vmcnt(1)
	v_fmac_f64_e32 v[16:17], v[28:29], v[0:1]
	scratch_load_dwordx2 v[0:1], off, off offset:656 ; 8-byte Folded Reload
	scratch_load_dwordx2 v[30:31], off, off offset:1888 ; 8-byte Folded Reload
	s_waitcnt vmcnt(1)
	v_mov_b64_e32 v[90:91], v[0:1]
	scratch_store_dwordx2 off, v[90:91], off offset:656 ; 8-byte Folded Spill
	s_waitcnt vmcnt(1)
	v_fmac_f64_e32 v[16:17], v[30:31], v[0:1]
	scratch_load_dwordx2 v[0:1], off, off offset:672 ; 8-byte Folded Reload
	scratch_load_dwordx2 v[42:43], off, off offset:1440 ; 8-byte Folded Reload
	s_waitcnt vmcnt(1)
	v_mov_b64_e32 v[106:107], v[0:1]
	scratch_store_dwordx2 off, v[106:107], off offset:672 ; 8-byte Folded Spill
	scratch_load_dwordx2 v[122:123], off, off offset:1232 ; 8-byte Folded Reload
	scratch_load_dwordx2 v[44:45], off, off offset:1992 ; 8-byte Folded Reload
	;; [unrolled: 1-line block ×6, first 2 shown]
	s_waitcnt vmcnt(7)
	v_fmac_f64_e32 v[16:17], v[42:43], v[0:1]
	v_fma_f64 v[0:1], v[2:3], v[12:13], 0
	s_waitcnt vmcnt(4)
	v_fmac_f64_e32 v[16:17], v[44:45], v[122:123]
	s_waitcnt vmcnt(2)
	v_fmac_f64_e32 v[16:17], v[70:71], v[94:95]
	s_waitcnt vmcnt(0)
	v_fmac_f64_e32 v[16:17], v[86:87], v[72:73]
	scratch_store_dwordx2 off, v[16:17], off offset:1672 ; 8-byte Folded Spill
	scratch_store_dwordx2 off, v[72:73], off offset:688 ; 8-byte Folded Spill
	scratch_load_dwordx2 v[88:89], off, off offset:1248 ; 8-byte Folded Reload
	scratch_load_dwordx2 v[24:25], off, off offset:1008 ; 8-byte Folded Reload
	;; [unrolled: 1-line block ×19, first 2 shown]
	s_waitcnt vmcnt(18)
	v_fmac_f64_e32 v[0:1], v[22:23], v[88:89]
	s_waitcnt vmcnt(17)
	v_fmac_f64_e32 v[0:1], v[28:29], v[24:25]
	scratch_store_dwordx2 off, v[112:113], off offset:576 ; 8-byte Folded Spill
	s_waitcnt vmcnt(16)
	v_fmac_f64_e32 v[0:1], v[30:31], v[32:33]
	s_waitcnt vmcnt(14)
	v_fmac_f64_e32 v[0:1], v[42:43], v[12:13]
	v_mov_b64_e32 v[78:79], v[12:13]
	scratch_load_dwordx2 v[12:13], off, off offset:1208 ; 8-byte Folded Reload
	s_waitcnt vmcnt(0)
	v_fmac_f64_e32 v[0:1], v[44:45], v[12:13]
	v_mov_b64_e32 v[96:97], v[12:13]
	scratch_load_dwordx2 v[12:13], off, off offset:1224 ; 8-byte Folded Reload
	v_fmac_f64_e32 v[0:1], v[70:71], v[114:115]
	scratch_store_dwordx2 off, v[56:57], off offset:624 ; 8-byte Folded Spill
	s_waitcnt vmcnt(1)
	v_fmac_f64_e32 v[0:1], v[86:87], v[12:13]
	scratch_store_dwordx2 off, v[0:1], off offset:1664 ; 8-byte Folded Spill
	scratch_load_dwordx2 v[0:1], off, off offset:928 ; 8-byte Folded Reload
	v_mov_b64_e32 v[104:105], v[12:13]
	v_fma_f64 v[12:13], v[2:3], v[10:11], 0
	v_fmac_f64_e32 v[12:13], v[22:23], v[26:27]
	v_fma_f64 v[10:11], v[2:3], v[8:9], 0
	v_fma_f64 v[8:9], v[2:3], v[6:7], 0
	v_fmac_f64_e32 v[8:9], v[22:23], v[124:125]
	v_fmac_f64_e32 v[8:9], v[28:29], v[52:53]
	v_fma_f64 v[6:7], v[2:3], v[4:5], 0
	s_waitcnt vmcnt(0)
	v_fmac_f64_e32 v[12:13], v[28:29], v[0:1]
	v_mov_b64_e32 v[60:61], v[0:1]
	scratch_load_dwordx2 v[0:1], off, off offset:1024 ; 8-byte Folded Reload
	v_fmac_f64_e32 v[12:13], v[30:31], v[74:75]
	v_fmac_f64_e32 v[12:13], v[42:43], v[18:19]
	s_waitcnt vmcnt(0)
	v_fmac_f64_e32 v[12:13], v[44:45], v[0:1]
	v_mov_b64_e32 v[76:77], v[0:1]
	scratch_load_dwordx2 v[0:1], off, off offset:864 ; 8-byte Folded Reload
	v_fmac_f64_e32 v[12:13], v[70:71], v[56:57]
	v_fmac_f64_e32 v[12:13], v[86:87], v[64:65]
	scratch_store_dwordx2 off, v[12:13], off offset:1680 ; 8-byte Folded Spill
	v_mov_b64_e32 v[12:13], v[126:127]
	v_fmac_f64_e32 v[6:7], v[22:23], v[12:13]
	s_waitcnt vmcnt(1)
	v_fmac_f64_e32 v[10:11], v[22:23], v[0:1]
	v_mov_b64_e32 v[54:55], v[0:1]
	scratch_load_dwordx2 v[0:1], off, off offset:1544 ; 8-byte Folded Reload
	s_waitcnt vmcnt(0)
	v_fmac_f64_e32 v[10:11], v[28:29], v[0:1]
	v_mov_b64_e32 v[58:59], v[0:1]
	scratch_load_dwordx2 v[0:1], off, off offset:896 ; 8-byte Folded Reload
	;; [unrolled: 4-line block ×4, first 2 shown]
	v_fmac_f64_e32 v[10:11], v[44:45], v[50:51]
	v_fmac_f64_e32 v[10:11], v[70:71], v[16:17]
	;; [unrolled: 1-line block ×3, first 2 shown]
	scratch_store_dwordx2 off, v[10:11], off offset:1792 ; 8-byte Folded Spill
	v_mov_b64_e32 v[68:69], v[66:67]
	s_waitcnt vmcnt(1)
	v_fmac_f64_e32 v[8:9], v[30:31], v[0:1]
	v_fmac_f64_e32 v[8:9], v[42:43], v[36:37]
	;; [unrolled: 1-line block ×5, first 2 shown]
	scratch_store_dwordx2 off, v[8:9], off offset:1872 ; 8-byte Folded Spill
	scratch_store_dwordx2 off, v[14:15], off offset:912 ; 8-byte Folded Spill
	v_mov_b64_e32 v[48:49], v[0:1]
	scratch_load_dwordx2 v[0:1], off, off offset:752 ; 8-byte Folded Reload
	scratch_load_dwordx2 v[100:101], off, off offset:784 ; 8-byte Folded Reload
	scratch_load_dwordx2 v[82:83], off, off offset:832 ; 8-byte Folded Reload
	scratch_load_dwordx2 v[84:85], off, off offset:1536 ; 8-byte Folded Reload
	scratch_load_dwordx2 v[20:21], off, off offset:848 ; 8-byte Folded Reload
	scratch_load_dwordx2 v[110:111], off, off offset:880 ; 8-byte Folded Reload
	scratch_load_dwordx2 v[4:5], off, off offset:736 ; 8-byte Folded Reload
	scratch_load_dwordx2 v[10:11], off, off offset:1040 ; 8-byte Folded Reload
	v_mov_b64_e32 v[8:9], v[120:121]
	scratch_load_dwordx2 v[118:119], off, off offset:2016 ; 8-byte Folded Reload
	scratch_load_dwordx2 v[116:117], off, off offset:1112 ; 8-byte Folded Reload
	scratch_load_dwordx2 v[120:121], off, off offset:1448 ; 8-byte Folded Reload
	scratch_load_dwordx2 v[126:127], off, off offset:1256 ; 8-byte Folded Reload
	scratch_load_dwordx2 v[108:109], off, off offset:1984 ; 8-byte Folded Reload
	s_waitcnt vmcnt(12)
	v_fmac_f64_e32 v[6:7], v[28:29], v[0:1]
	s_waitcnt vmcnt(11)
	v_fmac_f64_e32 v[6:7], v[30:31], v[100:101]
	;; [unrolled: 2-line block ×4, first 2 shown]
	v_fma_f64 v[0:1], v[2:3], v[46:47], 0
	scratch_load_dwordx2 v[46:47], off, off offset:800 ; 8-byte Folded Reload
	s_waitcnt vmcnt(9)
	v_fmac_f64_e32 v[6:7], v[70:71], v[20:21]
	s_waitcnt vmcnt(8)
	v_fmac_f64_e32 v[6:7], v[86:87], v[110:111]
	scratch_store_dwordx2 off, v[6:7], off offset:1880 ; 8-byte Folded Spill
	scratch_load_dwordx2 v[6:7], off, off offset:1272 ; 8-byte Folded Reload
	s_waitcnt vmcnt(8)
	v_fmac_f64_e32 v[0:1], v[22:23], v[10:11]
	v_fmac_f64_e32 v[0:1], v[28:29], v[8:9]
	scratch_store_dwordx2 off, v[100:101], off offset:784 ; 8-byte Folded Spill
	scratch_store_dwordx2 off, v[20:21], off offset:848 ; 8-byte Folded Spill
	scratch_store_dwordx2 off, v[24:25], off offset:1008 ; 8-byte Folded Spill
	scratch_store_dwordx2 off, v[32:33], off offset:1184 ; 8-byte Folded Spill
	scratch_store_dwordx2 off, v[104:105], off offset:1224 ; 8-byte Folded Spill
	s_waitcnt vmcnt(5)
	v_fmac_f64_e32 v[0:1], v[30:31], v[6:7]
	v_fmac_f64_e32 v[0:1], v[42:43], v[4:5]
	scratch_load_dwordx2 v[4:5], off, off offset:768 ; 8-byte Folded Reload
	s_waitcnt vmcnt(0)
	v_fmac_f64_e32 v[0:1], v[44:45], v[4:5]
	scratch_load_dwordx2 v[4:5], off, off offset:608 ; 8-byte Folded Reload
	v_fmac_f64_e32 v[0:1], v[70:71], v[46:47]
	scratch_store_dwordx2 off, v[46:47], off offset:800 ; 8-byte Folded Spill
	s_waitcnt vmcnt(1)
	v_fmac_f64_e32 v[0:1], v[86:87], v[4:5]
	scratch_load_dwordx2 v[4:5], off, off offset:1456 ; 8-byte Folded Reload
	s_nop 0
	scratch_store_dwordx2 off, v[0:1], off offset:1624 ; 8-byte Folded Spill
	v_fma_f64 v[0:1], v[2:3], v[102:103], 0
	scratch_load_dwordx2 v[2:3], off, off offset:592 ; 8-byte Folded Reload
	scratch_load_dwordx2 v[102:103], off, off offset:1976 ; 8-byte Folded Reload
	s_waitcnt vmcnt(3)
	v_fmac_f64_e32 v[0:1], v[22:23], v[4:5]
	v_fmac_f64_e32 v[0:1], v[28:29], v[116:117]
	;; [unrolled: 1-line block ×3, first 2 shown]
	v_mov_b64_e32 v[22:23], v[110:111]
	s_waitcnt vmcnt(1)
	v_fmac_f64_e32 v[0:1], v[42:43], v[2:3]
	scratch_load_dwordx2 v[2:3], off, off offset:1120 ; 8-byte Folded Reload
	v_fmac_f64_e32 v[0:1], v[44:45], v[126:127]
	scratch_load_dwordx2 v[44:45], off, off offset:1600 ; 8-byte Folded Reload
	v_mov_b64_e32 v[28:29], v[6:7]
	v_mov_b64_e32 v[42:43], v[8:9]
	scratch_store_dwordx2 off, v[22:23], off offset:880 ; 8-byte Folded Spill
	scratch_store_dwordx2 off, v[42:43], off offset:2032 ; 8-byte Folded Spill
	v_mov_b64_e32 v[110:111], v[126:127]
	s_waitcnt vmcnt(3)
	v_fmac_f64_e32 v[0:1], v[70:71], v[2:3]
	v_mov_b64_e32 v[30:31], v[2:3]
	scratch_load_dwordx2 v[2:3], off, off offset:1408 ; 8-byte Folded Reload
	scratch_load_dwordx2 v[70:71], off, off offset:1432 ; 8-byte Folded Reload
	v_fmac_f64_e32 v[0:1], v[86:87], v[118:119]
	scratch_load_dwordx2 v[86:87], off, off offset:1944 ; 8-byte Folded Reload
	s_nop 0
	scratch_store_dwordx2 off, v[0:1], off offset:1416 ; 8-byte Folded Spill
	s_waitcnt vmcnt(3)
	v_fma_f64 v[0:1], v[2:3], v[98:99], 0
	s_waitcnt vmcnt(2)
	v_fmac_f64_e32 v[0:1], v[70:71], v[92:93]
	v_fmac_f64_e32 v[0:1], v[44:45], v[80:81]
	s_waitcnt vmcnt(1)
	v_fmac_f64_e32 v[0:1], v[86:87], v[90:91]
	scratch_load_dwordx2 v[90:91], off, off offset:1960 ; 8-byte Folded Reload
	scratch_load_dwordx2 v[98:99], off, off offset:1968 ; 8-byte Folded Reload
	v_mov_b64_e32 v[80:81], v[76:77]
	s_waitcnt vmcnt(1)
	v_fmac_f64_e32 v[0:1], v[90:91], v[106:107]
	s_waitcnt vmcnt(0)
	v_fmac_f64_e32 v[0:1], v[98:99], v[122:123]
	v_fmac_f64_e32 v[0:1], v[102:103], v[94:95]
	v_fmac_f64_e32 v[0:1], v[108:109], v[72:73]
	scratch_store_dwordx2 off, v[0:1], off offset:1888 ; 8-byte Folded Spill
	v_fma_f64 v[0:1], v[2:3], v[112:113], 0
	v_fmac_f64_e32 v[0:1], v[70:71], v[88:89]
	v_fmac_f64_e32 v[0:1], v[44:45], v[24:25]
	;; [unrolled: 1-line block ×7, first 2 shown]
	scratch_store_dwordx2 off, v[0:1], off offset:1440 ; 8-byte Folded Spill
	scratch_load_dwordx2 v[0:1], off, off offset:528 ; 8-byte Folded Reload
	v_mov_b64_e32 v[106:107], v[78:79]
	v_mov_b64_e32 v[78:79], v[18:19]
	;; [unrolled: 1-line block ×5, first 2 shown]
	s_waitcnt vmcnt(0)
	v_fma_f64 v[0:1], v[2:3], v[0:1], 0
	v_fmac_f64_e32 v[0:1], v[70:71], v[26:27]
	v_fmac_f64_e32 v[0:1], v[44:45], v[60:61]
	;; [unrolled: 1-line block ×6, first 2 shown]
	v_mov_b64_e32 v[18:19], v[64:65]
	v_fmac_f64_e32 v[0:1], v[108:109], v[18:19]
	scratch_store_dwordx2 off, v[0:1], off offset:1608 ; 8-byte Folded Spill
	scratch_load_dwordx2 v[0:1], off, off offset:512 ; 8-byte Folded Reload
	v_mov_b64_e32 v[76:77], v[16:17]
	v_mov_b64_e32 v[60:61], v[58:59]
	;; [unrolled: 1-line block ×4, first 2 shown]
	s_waitcnt vmcnt(0)
	v_fma_f64 v[0:1], v[2:3], v[0:1], 0
	v_fmac_f64_e32 v[0:1], v[70:71], v[54:55]
	v_fmac_f64_e32 v[0:1], v[44:45], v[58:59]
	;; [unrolled: 1-line block ×6, first 2 shown]
	v_mov_b64_e32 v[16:17], v[34:35]
	v_fmac_f64_e32 v[0:1], v[108:109], v[16:17]
	scratch_store_dwordx2 off, v[0:1], off offset:1616 ; 8-byte Folded Spill
	scratch_load_dwordx2 v[0:1], off, off offset:496 ; 8-byte Folded Reload
	v_mov_b64_e32 v[34:35], v[124:125]
	v_mov_b64_e32 v[58:59], v[36:37]
	;; [unrolled: 1-line block ×5, first 2 shown]
	scratch_store_dwordx2 off, v[34:35], off offset:816 ; 8-byte Folded Spill
	v_mov_b64_e32 v[50:51], v[52:53]
	v_mov_b64_e32 v[124:125], v[84:85]
	s_waitcnt vmcnt(1)
	v_fma_f64 v[0:1], v[2:3], v[0:1], 0
	v_fmac_f64_e32 v[0:1], v[70:71], v[34:35]
	v_fmac_f64_e32 v[0:1], v[44:45], v[52:53]
	;; [unrolled: 1-line block ×7, first 2 shown]
	scratch_store_dwordx2 off, v[0:1], off offset:1632 ; 8-byte Folded Spill
	scratch_load_dwordx2 v[0:1], off, off offset:560 ; 8-byte Folded Reload
	v_mov_b64_e32 v[52:53], v[48:49]
	scratch_load_dwordx2 v[14:15], off, off offset:608 ; 8-byte Folded Reload
	scratch_load_dwordx2 v[36:37], off, off offset:752 ; 8-byte Folded Reload
	;; [unrolled: 1-line block ×4, first 2 shown]
	v_mov_b64_e32 v[48:49], v[12:13]
	s_waitcnt vmcnt(4)
	v_fma_f64 v[0:1], v[2:3], v[0:1], 0
	v_fmac_f64_e32 v[0:1], v[70:71], v[12:13]
	s_waitcnt vmcnt(2)
	v_fmac_f64_e32 v[0:1], v[44:45], v[36:37]
	v_fmac_f64_e32 v[0:1], v[86:87], v[100:101]
	;; [unrolled: 1-line block ×6, first 2 shown]
	scratch_store_dwordx2 off, v[0:1], off offset:1640 ; 8-byte Folded Spill
	scratch_load_dwordx2 v[0:1], off, off offset:704 ; 8-byte Folded Reload
	v_mov_b64_e32 v[82:83], v[10:11]
	scratch_store_dwordx2 off, v[82:83], off offset:1040 ; 8-byte Folded Spill
	v_mov_b64_e32 v[20:21], v[116:117]
	v_mov_b64_e32 v[100:101], v[4:5]
	;; [unrolled: 1-line block ×3, first 2 shown]
	s_waitcnt vmcnt(1)
	v_fma_f64 v[0:1], v[2:3], v[0:1], 0
	v_fmac_f64_e32 v[0:1], v[70:71], v[10:11]
	v_fmac_f64_e32 v[0:1], v[44:45], v[8:9]
	;; [unrolled: 1-line block ×3, first 2 shown]
	scratch_load_dwordx2 v[6:7], off, off offset:592 ; 8-byte Folded Reload
	v_fmac_f64_e32 v[0:1], v[90:91], v[38:39]
	v_fmac_f64_e32 v[0:1], v[98:99], v[40:41]
	;; [unrolled: 1-line block ×4, first 2 shown]
	scratch_store_dwordx2 off, v[0:1], off offset:1648 ; 8-byte Folded Spill
	scratch_load_dwordx2 v[0:1], off, off offset:1264 ; 8-byte Folded Reload
	v_mov_b64_e32 v[46:47], v[30:31]
	scratch_store_dwordx2 off, v[46:47], off offset:1120 ; 8-byte Folded Spill
	s_waitcnt vmcnt(3)
	scratch_store_dwordx2 off, v[6:7], off offset:592 ; 8-byte Folded Spill
	s_waitcnt vmcnt(2)
	v_fma_f64 v[0:1], v[2:3], v[0:1], 0
	v_fmac_f64_e32 v[0:1], v[70:71], v[4:5]
	v_fmac_f64_e32 v[0:1], v[44:45], v[116:117]
	;; [unrolled: 1-line block ×7, first 2 shown]
	scratch_store_dwordx2 off, v[0:1], off offset:1408 ; 8-byte Folded Spill
	scratch_load_dwordx2 v[2:3], off, off offset:1392 ; 8-byte Folded Reload
	s_nop 0
	scratch_load_dwordx2 v[0:1], off, off offset:720 ; 8-byte Folded Reload
	scratch_load_dwordx2 v[8:9], off, off offset:1424 ; 8-byte Folded Reload
	;; [unrolled: 1-line block ×12, first 2 shown]
	v_mov_b64_e32 v[102:103], v[106:107]
	v_mov_b64_e32 v[70:71], v[96:97]
	scratch_store_dwordx2 off, v[70:71], off offset:928 ; 8-byte Folded Spill
	scratch_store_dwordx2 off, v[74:75], off offset:960 ; 8-byte Folded Spill
	;; [unrolled: 1-line block ×3, first 2 shown]
	v_mov_b64_e32 v[106:107], v[48:49]
	scratch_load_dwordx2 v[96:97], off, off offset:624 ; 8-byte Folded Reload
	s_waitcnt vmcnt(15)
	v_fma_f64 v[0:1], v[2:3], v[0:1], 0
	s_waitcnt vmcnt(14)
	v_fmac_f64_e32 v[0:1], v[8:9], v[92:93]
	s_waitcnt vmcnt(12)
	v_fmac_f64_e32 v[0:1], v[90:91], v[10:11]
	;; [unrolled: 2-line block ×7, first 2 shown]
	scratch_store_dwordx2 off, v[0:1], off offset:1944 ; 8-byte Folded Spill
	scratch_load_dwordx2 v[0:1], off, off offset:576 ; 8-byte Folded Reload
	s_waitcnt vmcnt(0)
	v_fma_f64 v[0:1], v[2:3], v[0:1], 0
	v_fmac_f64_e32 v[0:1], v[8:9], v[88:89]
	v_fmac_f64_e32 v[0:1], v[90:91], v[24:25]
	;; [unrolled: 1-line block ×7, first 2 shown]
	scratch_store_dwordx2 off, v[0:1], off offset:1432 ; 8-byte Folded Spill
	scratch_load_dwordx2 v[0:1], off, off offset:528 ; 8-byte Folded Reload
	v_mov_b64_e32 v[24:25], v[16:17]
	v_mov_b64_e32 v[104:105], v[26:27]
	s_waitcnt vmcnt(0)
	v_fma_f64 v[0:1], v[2:3], v[0:1], 0
	v_fmac_f64_e32 v[0:1], v[8:9], v[26:27]
	v_fmac_f64_e32 v[0:1], v[90:91], v[70:71]
	;; [unrolled: 1-line block ×7, first 2 shown]
	scratch_store_dwordx2 off, v[84:85], off offset:1200 ; 8-byte Folded Spill
	scratch_store_dwordx2 off, v[0:1], off offset:1960 ; 8-byte Folded Spill
	scratch_load_dwordx2 v[0:1], off, off offset:512 ; 8-byte Folded Reload
	s_waitcnt vmcnt(0)
	v_fma_f64 v[0:1], v[2:3], v[0:1], 0
	v_fmac_f64_e32 v[0:1], v[8:9], v[56:57]
	v_fmac_f64_e32 v[0:1], v[90:91], v[60:61]
	;; [unrolled: 1-line block ×6, first 2 shown]
	scratch_store_dwordx2 off, v[64:65], off offset:896 ; 8-byte Folded Spill
	v_fmac_f64_e32 v[0:1], v[4:5], v[16:17]
	scratch_store_dwordx2 off, v[24:25], off offset:992 ; 8-byte Folded Spill
	scratch_store_dwordx2 off, v[0:1], off offset:1600 ; 8-byte Folded Spill
	scratch_load_dwordx2 v[0:1], off, off offset:496 ; 8-byte Folded Reload
	s_nop 0
	scratch_load_dwordx2 v[18:19], off, off offset:784 ; 8-byte Folded Reload
	scratch_load_dwordx2 v[30:31], off, off offset:912 ; 8-byte Folded Reload
	scratch_load_dwordx2 v[32:33], off, off offset:800 ; 8-byte Folded Reload
	s_waitcnt vmcnt(3)
	v_fma_f64 v[0:1], v[2:3], v[0:1], 0
	v_fmac_f64_e32 v[0:1], v[8:9], v[34:35]
	v_fmac_f64_e32 v[0:1], v[90:91], v[50:51]
	;; [unrolled: 1-line block ×6, first 2 shown]
	s_waitcnt vmcnt(1)
	v_fmac_f64_e32 v[0:1], v[4:5], v[30:31]
	scratch_store_dwordx2 off, v[0:1], off offset:1656 ; 8-byte Folded Spill
	scratch_load_dwordx2 v[0:1], off, off offset:560 ; 8-byte Folded Reload
	v_mov_b64_e32 v[34:35], v[54:55]
	scratch_load_dwordx2 v[54:55], off, off offset:848 ; 8-byte Folded Reload
	s_waitcnt vmcnt(1)
	v_fma_f64 v[0:1], v[2:3], v[0:1], 0
	v_fmac_f64_e32 v[0:1], v[8:9], v[48:49]
	v_fmac_f64_e32 v[0:1], v[90:91], v[36:37]
	;; [unrolled: 1-line block ×4, first 2 shown]
	v_mov_b64_e32 v[48:49], v[124:125]
	v_fmac_f64_e32 v[0:1], v[44:45], v[48:49]
	s_waitcnt vmcnt(0)
	v_fmac_f64_e32 v[0:1], v[86:87], v[54:55]
	v_fmac_f64_e32 v[0:1], v[4:5], v[22:23]
	scratch_store_dwordx2 off, v[0:1], off offset:1968 ; 8-byte Folded Spill
	scratch_load_dwordx2 v[0:1], off, off offset:704 ; 8-byte Folded Reload
	v_mov_b64_e32 v[124:125], v[12:13]
	v_mov_b64_e32 v[36:37], v[76:77]
	s_waitcnt vmcnt(0)
	v_fma_f64 v[0:1], v[2:3], v[0:1], 0
	v_fmac_f64_e32 v[0:1], v[8:9], v[82:83]
	v_fmac_f64_e32 v[0:1], v[90:91], v[42:43]
	;; [unrolled: 1-line block ×7, first 2 shown]
	scratch_store_dwordx2 off, v[0:1], off offset:1976 ; 8-byte Folded Spill
	scratch_store_dwordx2 off, v[14:15], off offset:608 ; 8-byte Folded Spill
	scratch_load_dwordx2 v[40:41], off, off offset:1264 ; 8-byte Folded Reload
	v_mov_b64_e32 v[28:29], v[20:21]
	v_mov_b64_e32 v[82:83], v[10:11]
	;; [unrolled: 1-line block ×3, first 2 shown]
	s_waitcnt vmcnt(0)
	v_fma_f64 v[0:1], v[2:3], v[40:41], 0
	v_fmac_f64_e32 v[0:1], v[8:9], v[100:101]
	v_fmac_f64_e32 v[0:1], v[90:91], v[20:21]
	;; [unrolled: 1-line block ×4, first 2 shown]
	v_mov_b64_e32 v[6:7], v[110:111]
	v_fmac_f64_e32 v[0:1], v[44:45], v[6:7]
	v_fmac_f64_e32 v[0:1], v[86:87], v[46:47]
	;; [unrolled: 1-line block ×3, first 2 shown]
	scratch_store_dwordx2 off, v[0:1], off offset:1392 ; 8-byte Folded Spill
	scratch_load_dwordx2 v[2:3], off, off offset:1368 ; 8-byte Folded Reload
	s_nop 0
	scratch_load_dwordx2 v[0:1], off, off offset:720 ; 8-byte Folded Reload
	scratch_load_dwordx2 v[8:9], off, off offset:1576 ; 8-byte Folded Reload
	;; [unrolled: 1-line block ×7, first 2 shown]
	v_mov_b64_e32 v[110:111], v[52:53]
	v_mov_b64_e32 v[4:5], v[118:119]
	;; [unrolled: 1-line block ×5, first 2 shown]
	scratch_store_dwordx2 off, v[92:93], off offset:1032 ; 8-byte Folded Spill
	scratch_store_dwordx2 off, v[98:99], off offset:864 ; 8-byte Folded Spill
	;; [unrolled: 1-line block ×7, first 2 shown]
	scratch_load_dwordx2 v[90:91], off, off offset:1896 ; 8-byte Folded Reload
	scratch_load_dwordx2 v[108:109], off, off offset:1912 ; 8-byte Folded Reload
	;; [unrolled: 1-line block ×4, first 2 shown]
	s_waitcnt vmcnt(17)
	v_fma_f64 v[26:27], v[2:3], v[0:1], 0
	scratch_load_dwordx2 v[0:1], off, off offset:1568 ; 8-byte Folded Reload
	s_waitcnt vmcnt(0)
	v_fmac_f64_e32 v[26:27], v[0:1], v[92:93]
	v_fmac_f64_e32 v[26:27], v[8:9], v[10:11]
	scratch_load_dwordx2 v[10:11], off, off offset:1584 ; 8-byte Folded Reload
	s_waitcnt vmcnt(0)
	v_fmac_f64_e32 v[26:27], v[10:11], v[12:13]
	scratch_load_dwordx2 v[12:13], off, off offset:1856 ; 8-byte Folded Reload
	s_waitcnt vmcnt(0)
	v_fmac_f64_e32 v[26:27], v[12:13], v[116:117]
	v_fmac_f64_e32 v[26:27], v[20:21], v[122:123]
	;; [unrolled: 1-line block ×4, first 2 shown]
	scratch_store_dwordx2 off, v[26:27], off offset:1424 ; 8-byte Folded Spill
	scratch_load_dwordx2 v[116:117], off, off offset:768 ; 8-byte Folded Reload
	v_fma_f64 v[26:27], v[2:3], v[16:17], 0
	scratch_load_dwordx2 v[16:17], off, off offset:528 ; 8-byte Folded Reload
	v_fmac_f64_e32 v[26:27], v[0:1], v[88:89]
	v_fmac_f64_e32 v[26:27], v[8:9], v[86:87]
	;; [unrolled: 1-line block ×7, first 2 shown]
	scratch_store_dwordx2 off, v[26:27], off offset:1592 ; 8-byte Folded Spill
	v_mov_b64_e32 v[102:103], v[72:73]
	scratch_store_dwordx2 off, v[102:103], off offset:944 ; 8-byte Folded Spill
	s_waitcnt vmcnt(2)
	v_fma_f64 v[26:27], v[2:3], v[16:17], 0
	v_fmac_f64_e32 v[26:27], v[0:1], v[104:105]
	v_fmac_f64_e32 v[26:27], v[8:9], v[70:71]
	v_fmac_f64_e32 v[26:27], v[10:11], v[74:75]
	v_fmac_f64_e32 v[26:27], v[12:13], v[78:79]
	v_fmac_f64_e32 v[26:27], v[20:21], v[80:81]
	v_fmac_f64_e32 v[26:27], v[90:91], v[96:97]
	v_fmac_f64_e32 v[26:27], v[108:109], v[84:85]
	scratch_store_dwordx2 off, v[26:27], off offset:1904 ; 8-byte Folded Spill
	scratch_load_dwordx2 v[26:27], off, off offset:512 ; 8-byte Folded Reload
	v_mov_b64_e32 v[16:17], v[80:81]
	scratch_load_dwordx2 v[96:97], off, off offset:816 ; 8-byte Folded Reload
	scratch_load_dwordx2 v[74:75], off, off offset:1272 ; 8-byte Folded Reload
	;; [unrolled: 1-line block ×3, first 2 shown]
	v_mov_b64_e32 v[80:81], v[106:107]
	scratch_load_dwordx2 v[106:107], off, off offset:752 ; 8-byte Folded Reload
	scratch_load_dwordx2 v[78:79], off, off offset:2032 ; 8-byte Folded Reload
	v_mov_b64_e32 v[84:85], v[94:95]
	scratch_store_dwordx2 off, v[16:17], off offset:1024 ; 8-byte Folded Spill
	s_waitcnt vmcnt(6)
	v_fma_f64 v[26:27], v[2:3], v[26:27], 0
	v_fmac_f64_e32 v[26:27], v[0:1], v[56:57]
	v_fmac_f64_e32 v[26:27], v[8:9], v[60:61]
	;; [unrolled: 1-line block ×6, first 2 shown]
	scratch_load_dwordx2 v[76:77], off, off offset:1456 ; 8-byte Folded Reload
	v_fmac_f64_e32 v[26:27], v[108:109], v[24:25]
	scratch_load_dwordx2 v[24:25], off, off offset:496 ; 8-byte Folded Reload
	v_mov_b64_e32 v[64:65], v[34:35]
	scratch_store_dwordx2 off, v[26:27], off offset:1920 ; 8-byte Folded Spill
	scratch_load_dwordx2 v[26:27], off, off offset:560 ; 8-byte Folded Reload
	v_mov_b64_e32 v[56:57], v[48:49]
	scratch_store_dwordx2 off, v[64:65], off offset:832 ; 8-byte Folded Spill
	v_mov_b64_e32 v[72:73], v[88:89]
	v_mov_b64_e32 v[88:89], v[100:101]
	s_waitcnt vmcnt(7)
	v_mov_b64_e32 v[94:95], v[106:107]
	s_waitcnt vmcnt(3)
	v_fma_f64 v[44:45], v[2:3], v[24:25], 0
	v_fmac_f64_e32 v[44:45], v[0:1], v[96:97]
	v_fmac_f64_e32 v[44:45], v[8:9], v[50:51]
	;; [unrolled: 1-line block ×4, first 2 shown]
	s_waitcnt vmcnt(1)
	v_fma_f64 v[52:53], v[2:3], v[26:27], 0
	v_fmac_f64_e32 v[44:45], v[20:21], v[62:63]
	v_fmac_f64_e32 v[52:53], v[0:1], v[80:81]
	;; [unrolled: 1-line block ×6, first 2 shown]
	scratch_store_dwordx2 off, v[44:45], off offset:1928 ; 8-byte Folded Spill
	v_fmac_f64_e32 v[52:53], v[12:13], v[34:35]
	v_fma_f64 v[34:35], v[2:3], v[46:47], 0
	v_fma_f64 v[2:3], v[2:3], v[40:41], 0
	v_mov_b64_e32 v[44:45], v[40:41]
	scratch_load_dwordx2 v[40:41], off, off offset:1448 ; 8-byte Folded Reload
	v_mov_b64_e32 v[24:25], v[66:67]
	scratch_load_dwordx2 v[66:67], off, off offset:1120 ; 8-byte Folded Reload
	scratch_load_dwordx2 v[26:27], off, off offset:880 ; 8-byte Folded Reload
	;; [unrolled: 1-line block ×3, first 2 shown]
	v_fmac_f64_e32 v[34:35], v[0:1], v[42:43]
	v_fmac_f64_e32 v[2:3], v[0:1], v[76:77]
	;; [unrolled: 1-line block ×7, first 2 shown]
	scratch_store_dwordx2 off, v[24:25], off offset:1160 ; 8-byte Folded Spill
	v_mov_b64_e32 v[18:19], v[54:55]
	v_mov_b64_e32 v[106:107], v[116:117]
	s_waitcnt vmcnt(4)
	v_fmac_f64_e32 v[2:3], v[10:11], v[40:41]
	v_fmac_f64_e32 v[2:3], v[12:13], v[126:127]
	;; [unrolled: 1-line block ×3, first 2 shown]
	s_waitcnt vmcnt(3)
	v_fmac_f64_e32 v[2:3], v[90:91], v[66:67]
	s_waitcnt vmcnt(1)
	v_fmac_f64_e32 v[34:35], v[12:13], v[58:59]
	v_fmac_f64_e32 v[34:35], v[20:21], v[116:117]
	;; [unrolled: 1-line block ×6, first 2 shown]
	scratch_store_dwordx2 off, v[52:53], off offset:1936 ; 8-byte Folded Spill
	scratch_store_dwordx2 off, v[34:35], off offset:1952 ; 8-byte Folded Spill
	;; [unrolled: 1-line block ×3, first 2 shown]
	scratch_load_dwordx2 v[2:3], off, off offset:1360 ; 8-byte Folded Reload
	s_nop 0
	scratch_load_dwordx2 v[0:1], off, off offset:720 ; 8-byte Folded Reload
	v_mov_b64_e32 v[10:11], v[4:5]
	scratch_load_dwordx2 v[4:5], off, off offset:1528 ; 8-byte Folded Reload
	scratch_load_dwordx2 v[6:7], off, off offset:1560 ; 8-byte Folded Reload
	;; [unrolled: 1-line block ×5, first 2 shown]
	v_mov_b64_e32 v[108:109], v[22:23]
	scratch_store_dwordx2 off, v[84:85], off offset:1240 ; 8-byte Folded Spill
	v_mov_b64_e32 v[34:35], v[26:27]
	v_mov_b64_e32 v[100:101], v[58:59]
	s_waitcnt vmcnt(6)
	v_fma_f64 v[28:29], v[2:3], v[0:1], 0
	scratch_load_dwordx2 v[0:1], off, off offset:1808 ; 8-byte Folded Reload
	s_waitcnt vmcnt(6)
	v_fmac_f64_e32 v[28:29], v[4:5], v[92:93]
	s_waitcnt vmcnt(5)
	v_fmac_f64_e32 v[28:29], v[6:7], v[82:83]
	v_mov_b64_e32 v[82:83], v[104:105]
	v_mov_b64_e32 v[92:93], v[96:97]
	s_waitcnt vmcnt(0)
	v_fmac_f64_e32 v[28:29], v[0:1], v[124:125]
	v_fmac_f64_e32 v[28:29], v[8:9], v[38:39]
	v_mov_b64_e32 v[38:39], v[122:123]
	scratch_store_dwordx2 off, v[38:39], off offset:1232 ; 8-byte Folded Spill
	scratch_load_dwordx2 v[20:21], off, off offset:1848 ; 8-byte Folded Reload
	scratch_load_dwordx2 v[70:71], off, off offset:688 ; 8-byte Folded Reload
	v_fmac_f64_e32 v[28:29], v[12:13], v[122:123]
	v_fmac_f64_e32 v[28:29], v[14:15], v[84:85]
	scratch_load_dwordx2 v[32:33], off, off offset:928 ; 8-byte Folded Reload
	scratch_load_dwordx2 v[52:53], off, off offset:976 ; 8-byte Folded Reload
	;; [unrolled: 1-line block ×8, first 2 shown]
	v_mov_b64_e32 v[124:125], v[112:113]
	v_mov_b64_e32 v[122:123], v[40:41]
	scratch_store_dwordx2 off, v[72:73], off offset:1248 ; 8-byte Folded Spill
	scratch_store_dwordx2 off, v[82:83], off offset:1168 ; 8-byte Folded Spill
	s_waitcnt vmcnt(10)
	v_fmac_f64_e32 v[28:29], v[20:21], v[70:71]
	scratch_store_dwordx2 off, v[28:29], off offset:1568 ; 8-byte Folded Spill
	scratch_load_dwordx2 v[28:29], off, off offset:576 ; 8-byte Folded Reload
	s_waitcnt vmcnt(0)
	v_fma_f64 v[28:29], v[2:3], v[28:29], 0
	v_fmac_f64_e32 v[28:29], v[4:5], v[72:73]
	v_fmac_f64_e32 v[28:29], v[6:7], v[86:87]
	;; [unrolled: 1-line block ×7, first 2 shown]
	scratch_store_dwordx2 off, v[28:29], off offset:1576 ; 8-byte Folded Spill
	v_fma_f64 v[28:29], v[2:3], v[22:23], 0
	v_fmac_f64_e32 v[28:29], v[4:5], v[82:83]
	v_fmac_f64_e32 v[28:29], v[6:7], v[32:33]
	;; [unrolled: 1-line block ×5, first 2 shown]
	scratch_load_dwordx2 v[16:17], off, off offset:512 ; 8-byte Folded Reload
	scratch_load_dwordx2 v[86:87], off, off offset:896 ; 8-byte Folded Reload
	;; [unrolled: 1-line block ×3, first 2 shown]
	s_waitcnt vmcnt(2)
	v_fma_f64 v[22:23], v[2:3], v[16:17], 0
	scratch_load_dwordx2 v[16:17], off, off offset:496 ; 8-byte Folded Reload
	v_fmac_f64_e32 v[22:23], v[4:5], v[98:99]
	v_fmac_f64_e32 v[22:23], v[6:7], v[60:61]
	s_waitcnt vmcnt(2)
	v_fmac_f64_e32 v[22:23], v[0:1], v[86:87]
	v_fmac_f64_e32 v[22:23], v[8:9], v[68:69]
	;; [unrolled: 1-line block ×4, first 2 shown]
	scratch_load_dwordx2 v[36:37], off, off offset:784 ; 8-byte Folded Reload
	scratch_load_dwordx2 v[102:103], off, off offset:800 ; 8-byte Folded Reload
	v_fmac_f64_e32 v[28:29], v[14:15], v[54:55]
	v_fmac_f64_e32 v[28:29], v[20:21], v[90:91]
	;; [unrolled: 1-line block ×3, first 2 shown]
	scratch_store_dwordx2 off, v[28:29], off offset:1584 ; 8-byte Folded Spill
	scratch_store_dwordx2 off, v[22:23], off offset:1856 ; 8-byte Folded Spill
	v_mov_b64_e32 v[28:29], v[120:121]
	v_mov_b64_e32 v[22:23], v[126:127]
	s_waitcnt vmcnt(4)
	v_fma_f64 v[16:17], v[2:3], v[16:17], 0
	v_fmac_f64_e32 v[16:17], v[4:5], v[92:93]
	v_fmac_f64_e32 v[16:17], v[6:7], v[50:51]
	;; [unrolled: 1-line block ×4, first 2 shown]
	scratch_load_dwordx2 v[118:119], off, off offset:560 ; 8-byte Folded Reload
	v_fmac_f64_e32 v[16:17], v[12:13], v[62:63]
	v_fmac_f64_e32 v[16:17], v[14:15], v[24:25]
	;; [unrolled: 1-line block ×3, first 2 shown]
	scratch_store_dwordx2 off, v[16:17], off offset:1864 ; 8-byte Folded Spill
	v_mov_b64_e32 v[110:111], v[76:77]
	v_mov_b64_e32 v[50:51], v[56:57]
	;; [unrolled: 1-line block ×3, first 2 shown]
	s_waitcnt vmcnt(1)
	v_fma_f64 v[16:17], v[2:3], v[118:119], 0
	v_fmac_f64_e32 v[16:17], v[4:5], v[80:81]
	v_fmac_f64_e32 v[16:17], v[6:7], v[94:95]
	;; [unrolled: 1-line block ×7, first 2 shown]
	scratch_store_dwordx2 off, v[16:17], off offset:1896 ; 8-byte Folded Spill
	v_fma_f64 v[16:17], v[2:3], v[46:47], 0
	v_fmac_f64_e32 v[16:17], v[4:5], v[42:43]
	v_fmac_f64_e32 v[16:17], v[6:7], v[78:79]
	;; [unrolled: 1-line block ×3, first 2 shown]
	scratch_load_dwordx2 v[74:75], off, off offset:608 ; 8-byte Folded Reload
	v_fma_f64 v[2:3], v[2:3], v[44:45], 0
	v_fmac_f64_e32 v[2:3], v[4:5], v[76:77]
	v_fmac_f64_e32 v[2:3], v[6:7], v[112:113]
	;; [unrolled: 1-line block ×10, first 2 shown]
	scratch_store_dwordx2 off, v[2:3], off offset:1360 ; 8-byte Folded Spill
	v_mov_b64_e32 v[56:57], v[124:125]
	v_mov_b64_e32 v[44:45], v[50:51]
	;; [unrolled: 1-line block ×4, first 2 shown]
	s_waitcnt vmcnt(1)
	v_fmac_f64_e32 v[16:17], v[20:21], v[74:75]
	scratch_store_dwordx2 off, v[16:17], off offset:1912 ; 8-byte Folded Spill
	scratch_load_dwordx2 v[2:3], off, off offset:1352 ; 8-byte Folded Reload
	scratch_load_dwordx2 v[98:99], off, off offset:720 ; 8-byte Folded Reload
	;; [unrolled: 1-line block ×8, first 2 shown]
	v_mov_b64_e32 v[20:21], v[10:11]
	scratch_load_dwordx2 v[10:11], off, off offset:1400 ; 8-byte Folded Reload
	scratch_load_dwordx2 v[16:17], off, off offset:672 ; 8-byte Folded Reload
	;; [unrolled: 1-line block ×11, first 2 shown]
	s_waitcnt vmcnt(18)
	v_fma_f64 v[118:119], v[2:3], v[118:119], 0
	s_waitcnt vmcnt(17)
	v_fma_f64 v[26:27], v[2:3], v[98:99], 0
	s_waitcnt vmcnt(15)
	v_fmac_f64_e32 v[26:27], v[4:5], v[64:65]
	s_waitcnt vmcnt(13)
	v_fmac_f64_e32 v[26:27], v[6:7], v[18:19]
	;; [unrolled: 2-line block ×3, first 2 shown]
	v_fmac_f64_e32 v[118:119], v[4:5], v[80:81]
	s_waitcnt vmcnt(9)
	v_fmac_f64_e32 v[26:27], v[10:11], v[16:17]
	s_waitcnt vmcnt(8)
	v_fmac_f64_e32 v[26:27], v[12:13], v[38:39]
	scratch_load_dwordx2 v[38:39], off, off offset:864 ; 8-byte Folded Reload
	s_waitcnt vmcnt(8)
	v_fmac_f64_e32 v[26:27], v[14:15], v[84:85]
	s_waitcnt vmcnt(6)
	v_fma_f64 v[24:25], v[2:3], v[24:25], 0
	v_fmac_f64_e32 v[24:25], v[4:5], v[72:73]
	s_waitcnt vmcnt(5)
	v_fmac_f64_e32 v[24:25], v[6:7], v[76:77]
	v_fmac_f64_e32 v[24:25], v[8:9], v[88:89]
	;; [unrolled: 1-line block ×6, first 2 shown]
	scratch_store_dwordx2 off, v[24:25], off offset:1560 ; 8-byte Folded Spill
	scratch_load_dwordx2 v[24:25], off, off offset:528 ; 8-byte Folded Reload
	v_fmac_f64_e32 v[26:27], v[0:1], v[70:71]
	scratch_store_dwordx2 off, v[26:27], off offset:1528 ; 8-byte Folded Spill
	scratch_load_dwordx2 v[26:27], off, off offset:1024 ; 8-byte Folded Reload
	v_mov_b64_e32 v[70:71], v[48:49]
	scratch_load_dwordx2 v[84:85], off, off offset:704 ; 8-byte Folded Reload
	v_fmac_f64_e32 v[118:119], v[6:7], v[94:95]
	v_fmac_f64_e32 v[118:119], v[8:9], v[36:37]
	v_mov_b64_e32 v[72:73], v[114:115]
	scratch_store_dwordx2 off, v[28:29], off offset:1192 ; 8-byte Folded Spill
	scratch_store_dwordx2 off, v[56:57], off offset:1208 ; 8-byte Folded Spill
	;; [unrolled: 1-line block ×4, first 2 shown]
	s_waitcnt vmcnt(7)
	v_fma_f64 v[126:127], v[2:3], v[24:25], 0
	v_fmac_f64_e32 v[126:127], v[4:5], v[82:83]
	v_fmac_f64_e32 v[126:127], v[6:7], v[32:33]
	scratch_load_dwordx2 v[24:25], off, off offset:512 ; 8-byte Folded Reload
	scratch_load_dwordx2 v[32:33], off, off offset:496 ; 8-byte Folded Reload
	v_fmac_f64_e32 v[126:127], v[8:9], v[48:49]
	v_fmac_f64_e32 v[126:127], v[10:11], v[52:53]
	s_waitcnt vmcnt(7)
	v_fmac_f64_e32 v[126:127], v[12:13], v[26:27]
	v_fmac_f64_e32 v[126:127], v[14:15], v[54:55]
	scratch_load_dwordx2 v[54:55], off, off offset:1152 ; 8-byte Folded Reload
	v_mov_b64_e32 v[48:49], v[60:61]
	v_mov_b64_e32 v[82:83], v[86:87]
	scratch_load_dwordx2 v[52:53], off, off offset:1176 ; 8-byte Folded Reload
	v_mov_b64_e32 v[60:61], v[68:69]
	s_waitcnt vmcnt(8)
	v_fma_f64 v[116:117], v[2:3], v[84:85], 0
	v_fmac_f64_e32 v[126:127], v[0:1], v[90:91]
	s_waitcnt vmcnt(3)
	v_fma_f64 v[124:125], v[2:3], v[24:25], 0
	s_waitcnt vmcnt(2)
	v_fma_f64 v[120:121], v[2:3], v[32:33], 0
	scratch_load_dwordx2 v[32:33], off, off offset:1160 ; 8-byte Folded Reload
	v_fmac_f64_e32 v[120:121], v[4:5], v[92:93]
	v_fmac_f64_e32 v[120:121], v[6:7], v[40:41]
	;; [unrolled: 1-line block ×7, first 2 shown]
	v_mov_b64_e32 v[86:87], v[36:37]
	scratch_load_dwordx2 v[36:37], off, off offset:1272 ; 8-byte Folded Reload
	s_waitcnt vmcnt(3)
	v_fmac_f64_e32 v[120:121], v[12:13], v[54:55]
	scratch_load_dwordx2 v[24:25], off, off offset:944 ; 8-byte Folded Reload
	v_fmac_f64_e32 v[124:125], v[10:11], v[68:69]
	s_waitcnt vmcnt(2)
	v_fmac_f64_e32 v[120:121], v[14:15], v[32:33]
	v_fmac_f64_e32 v[120:121], v[0:1], v[30:31]
	scratch_load_dwordx2 v[30:31], off, off offset:1040 ; 8-byte Folded Reload
	scratch_load_dwordx2 v[68:69], off, off offset:832 ; 8-byte Folded Reload
	s_waitcnt vmcnt(2)
	v_fmac_f64_e32 v[124:125], v[12:13], v[24:25]
	v_fmac_f64_e32 v[124:125], v[14:15], v[52:53]
	;; [unrolled: 1-line block ×3, first 2 shown]
	v_mov_b64_e32 v[104:105], v[92:93]
	v_mov_b64_e32 v[92:93], v[78:79]
	s_waitcnt vmcnt(1)
	v_fmac_f64_e32 v[116:117], v[4:5], v[30:31]
	s_waitcnt vmcnt(0)
	v_fmac_f64_e32 v[118:119], v[10:11], v[68:69]
	v_fmac_f64_e32 v[116:117], v[6:7], v[62:63]
	;; [unrolled: 1-line block ×8, first 2 shown]
	v_mov_b64_e32 v[34:35], v[102:103]
	v_fmac_f64_e32 v[116:117], v[14:15], v[34:35]
	v_fmac_f64_e32 v[116:117], v[0:1], v[74:75]
	scratch_load_dwordx2 v[74:75], off, off offset:1264 ; 8-byte Folded Reload
	s_waitcnt vmcnt(0)
	v_fma_f64 v[114:115], v[2:3], v[74:75], 0
	scratch_load_dwordx2 v[2:3], off, off offset:1344 ; 8-byte Folded Reload
	v_fmac_f64_e32 v[114:115], v[4:5], v[110:111]
	scratch_load_dwordx2 v[4:5], off, off offset:1496 ; 8-byte Folded Reload
	v_fmac_f64_e32 v[114:115], v[6:7], v[112:113]
	;; [unrolled: 2-line block ×5, first 2 shown]
	v_fmac_f64_e32 v[114:115], v[14:15], v[78:79]
	v_fmac_f64_e32 v[114:115], v[0:1], v[20:21]
	v_mov_b64_e32 v[0:1], v[20:21]
	v_mov_b64_e32 v[78:79], v[76:77]
	s_waitcnt vmcnt(4)
	v_fma_f64 v[102:103], v[2:3], v[98:99], 0
	s_waitcnt vmcnt(3)
	v_fmac_f64_e32 v[102:103], v[4:5], v[64:65]
	s_waitcnt vmcnt(2)
	v_fmac_f64_e32 v[102:103], v[6:7], v[18:19]
	scratch_load_dwordx2 v[12:13], off, off offset:1760 ; 8-byte Folded Reload
	scratch_load_dwordx2 v[18:19], off, off offset:1232 ; 8-byte Folded Reload
	s_waitcnt vmcnt(3)
	v_fmac_f64_e32 v[102:103], v[8:9], v[42:43]
	s_waitcnt vmcnt(2)
	v_fmac_f64_e32 v[102:103], v[10:11], v[16:17]
	scratch_load_dwordx2 v[14:15], off, off offset:1768 ; 8-byte Folded Reload
	scratch_load_dwordx2 v[16:17], off, off offset:1240 ; 8-byte Folded Reload
	;; [unrolled: 1-line block ×6, first 2 shown]
	s_waitcnt vmcnt(6)
	v_fmac_f64_e32 v[102:103], v[12:13], v[18:19]
	s_waitcnt vmcnt(4)
	v_fmac_f64_e32 v[102:103], v[14:15], v[16:17]
	;; [unrolled: 2-line block ×3, first 2 shown]
	s_waitcnt vmcnt(2)
	v_fma_f64 v[98:99], v[2:3], v[42:43], 0
	scratch_load_dwordx2 v[42:43], off, off offset:976 ; 8-byte Folded Reload
	scratch_load_dwordx2 v[66:67], off, off offset:1168 ; 8-byte Folded Reload
	s_waitcnt vmcnt(2)
	v_fmac_f64_e32 v[98:99], v[4:5], v[76:77]
	v_fmac_f64_e32 v[98:99], v[6:7], v[78:79]
	;; [unrolled: 1-line block ×4, first 2 shown]
	scratch_load_dwordx2 v[28:29], off, off offset:528 ; 8-byte Folded Reload
	v_fmac_f64_e32 v[98:99], v[12:13], v[56:57]
	scratch_load_dwordx2 v[56:57], off, off offset:624 ; 8-byte Folded Reload
	v_fmac_f64_e32 v[98:99], v[14:15], v[72:73]
	v_mov_b64_e32 v[72:73], v[108:109]
	scratch_load_dwordx2 v[108:109], off, off offset:608 ; 8-byte Folded Reload
	v_fmac_f64_e32 v[98:99], v[20:21], v[72:73]
	s_waitcnt vmcnt(2)
	v_fma_f64 v[112:113], v[2:3], v[28:29], 0
	v_fmac_f64_e32 v[112:113], v[4:5], v[66:67]
	v_fmac_f64_e32 v[112:113], v[6:7], v[64:65]
	;; [unrolled: 1-line block ×5, first 2 shown]
	scratch_load_dwordx2 v[26:27], off, off offset:512 ; 8-byte Folded Reload
	scratch_load_dwordx2 v[28:29], off, off offset:560 ; 8-byte Folded Reload
	s_waitcnt vmcnt(3)
	v_fmac_f64_e32 v[112:113], v[14:15], v[56:57]
	v_fmac_f64_e32 v[112:113], v[20:21], v[90:91]
	s_waitcnt vmcnt(1)
	v_fma_f64 v[70:71], v[2:3], v[26:27], 0
	scratch_load_dwordx2 v[26:27], off, off offset:496 ; 8-byte Folded Reload
	v_fmac_f64_e32 v[70:71], v[4:5], v[38:39]
	v_fmac_f64_e32 v[70:71], v[6:7], v[48:49]
	;; [unrolled: 1-line block ×4, first 2 shown]
	v_mov_b64_e32 v[82:83], v[60:61]
	v_fmac_f64_e32 v[70:71], v[12:13], v[24:25]
	scratch_load_dwordx2 v[38:39], off, off offset:992 ; 8-byte Folded Reload
	scratch_load_dwordx2 v[24:25], off, off offset:880 ; 8-byte Folded Reload
	v_fmac_f64_e32 v[70:71], v[14:15], v[52:53]
	s_waitcnt vmcnt(2)
	v_fma_f64 v[60:61], v[2:3], v[26:27], 0
	v_fmac_f64_e32 v[60:61], v[4:5], v[104:105]
	v_fmac_f64_e32 v[60:61], v[6:7], v[40:41]
	;; [unrolled: 1-line block ×5, first 2 shown]
	v_mov_b64_e32 v[104:105], v[54:55]
	v_fma_f64 v[54:55], v[2:3], v[28:29], 0
	v_fmac_f64_e32 v[54:55], v[4:5], v[80:81]
	v_fmac_f64_e32 v[54:55], v[6:7], v[94:95]
	v_mov_b64_e32 v[28:29], v[86:87]
	v_fmac_f64_e32 v[54:55], v[8:9], v[28:29]
	scratch_load_dwordx2 v[26:27], off, off offset:912 ; 8-byte Folded Reload
	v_fmac_f64_e32 v[54:55], v[10:11], v[68:69]
	v_fma_f64 v[68:69], v[2:3], v[84:85], 0
	v_fma_f64 v[80:81], v[2:3], v[74:75], 0
	scratch_load_dwordx2 v[2:3], off, off offset:1112 ; 8-byte Folded Reload
	v_fmac_f64_e32 v[80:81], v[4:5], v[110:111]
	v_fmac_f64_e32 v[68:69], v[4:5], v[30:31]
	;; [unrolled: 1-line block ×10, first 2 shown]
	s_waitcnt vmcnt(3)
	v_fmac_f64_e32 v[70:71], v[20:21], v[38:39]
	s_waitcnt vmcnt(2)
	v_fmac_f64_e32 v[54:55], v[20:21], v[24:25]
	v_fmac_f64_e32 v[68:69], v[20:21], v[108:109]
	s_waitcnt vmcnt(1)
	v_fmac_f64_e32 v[60:61], v[20:21], v[26:27]
	s_waitcnt vmcnt(0)
	v_fmac_f64_e32 v[80:81], v[6:7], v[2:3]
	v_fmac_f64_e32 v[80:81], v[8:9], v[122:123]
	;; [unrolled: 1-line block ×6, first 2 shown]
	v_mov_b64_e32 v[22:23], v[0:1]
	scratch_load_dwordx2 v[96:97], off, off offset:1512 ; 8-byte Folded Reload
	scratch_load_dwordx2 v[0:1], off, off offset:720 ; 8-byte Folded Reload
	v_mov_b64_e32 v[12:13], v[92:93]
	s_waitcnt vmcnt(0)
	v_fma_f64 v[84:85], v[96:97], v[0:1], 0
	scratch_load_dwordx2 v[20:21], off, off offset:1488 ; 8-byte Folded Reload
	scratch_load_dwordx2 v[0:1], off, off offset:1032 ; 8-byte Folded Reload
	s_waitcnt vmcnt(0)
	v_fmac_f64_e32 v[84:85], v[20:21], v[0:1]
	scratch_load_dwordx2 v[14:15], off, off offset:1480 ; 8-byte Folded Reload
	scratch_load_dwordx2 v[0:1], off, off offset:640 ; 8-byte Folded Reload
	s_waitcnt vmcnt(0)
	v_fmac_f64_e32 v[84:85], v[14:15], v[0:1]
	;; [unrolled: 4-line block ×3, first 2 shown]
	scratch_load_dwordx2 v[8:9], off, off offset:1728 ; 8-byte Folded Reload
	scratch_load_dwordx2 v[0:1], off, off offset:672 ; 8-byte Folded Reload
	;; [unrolled: 1-line block ×4, first 2 shown]
	s_waitcnt vmcnt(2)
	v_fmac_f64_e32 v[84:85], v[8:9], v[0:1]
	scratch_load_dwordx2 v[4:5], off, off offset:1472 ; 8-byte Folded Reload
	scratch_load_dwordx2 v[0:1], off, off offset:688 ; 8-byte Folded Reload
	s_waitcnt vmcnt(3)
	v_fmac_f64_e32 v[84:85], v[2:3], v[18:19]
	s_waitcnt vmcnt(2)
	v_fmac_f64_e32 v[84:85], v[6:7], v[16:17]
	;; [unrolled: 2-line block ×3, first 2 shown]
	scratch_load_dwordx2 v[0:1], off, off offset:576 ; 8-byte Folded Reload
	s_waitcnt vmcnt(0)
	v_fma_f64 v[86:87], v[96:97], v[0:1], 0
	scratch_load_dwordx2 v[0:1], off, off offset:1192 ; 8-byte Folded Reload
	v_fmac_f64_e32 v[86:87], v[20:21], v[76:77]
	v_fmac_f64_e32 v[86:87], v[14:15], v[78:79]
	;; [unrolled: 1-line block ×3, first 2 shown]
	s_waitcnt vmcnt(0)
	v_fmac_f64_e32 v[86:87], v[8:9], v[0:1]
	scratch_load_dwordx2 v[0:1], off, off offset:1208 ; 8-byte Folded Reload
	s_waitcnt vmcnt(0)
	v_fmac_f64_e32 v[86:87], v[2:3], v[0:1]
	scratch_load_dwordx2 v[0:1], off, off offset:1216 ; 8-byte Folded Reload
	;; [unrolled: 3-line block ×3, first 2 shown]
	v_fmac_f64_e32 v[86:87], v[4:5], v[72:73]
	s_waitcnt vmcnt(0)
	v_fma_f64 v[88:89], v[96:97], v[0:1], 0
	scratch_load_dwordx2 v[0:1], off, off offset:960 ; 8-byte Folded Reload
	v_fmac_f64_e32 v[88:89], v[20:21], v[66:67]
	v_fmac_f64_e32 v[88:89], v[14:15], v[64:65]
	s_waitcnt vmcnt(0)
	v_fmac_f64_e32 v[88:89], v[10:11], v[0:1]
	scratch_load_dwordx2 v[0:1], off, off offset:1024 ; 8-byte Folded Reload
	v_fmac_f64_e32 v[88:89], v[8:9], v[42:43]
	s_waitcnt vmcnt(0)
	v_fmac_f64_e32 v[88:89], v[2:3], v[0:1]
	scratch_load_dwordx2 v[0:1], off, off offset:512 ; 8-byte Folded Reload
	v_fmac_f64_e32 v[88:89], v[6:7], v[56:57]
	v_fmac_f64_e32 v[88:89], v[4:5], v[90:91]
	s_waitcnt vmcnt(0)
	v_fma_f64 v[90:91], v[96:97], v[0:1], 0
	scratch_load_dwordx2 v[0:1], off, off offset:864 ; 8-byte Folded Reload
	s_waitcnt vmcnt(0)
	v_fmac_f64_e32 v[90:91], v[20:21], v[0:1]
	scratch_load_dwordx2 v[0:1], off, off offset:896 ; 8-byte Folded Reload
	v_fmac_f64_e32 v[90:91], v[14:15], v[48:49]
	s_waitcnt vmcnt(0)
	v_fmac_f64_e32 v[90:91], v[10:11], v[0:1]
	scratch_load_dwordx2 v[0:1], off, off offset:944 ; 8-byte Folded Reload
	v_fmac_f64_e32 v[90:91], v[8:9], v[82:83]
	;; [unrolled: 4-line block ×3, first 2 shown]
	v_fmac_f64_e32 v[90:91], v[4:5], v[38:39]
	s_waitcnt vmcnt(0)
	v_fma_f64 v[82:83], v[96:97], v[0:1], 0
	scratch_load_dwordx2 v[0:1], off, off offset:816 ; 8-byte Folded Reload
	s_waitcnt vmcnt(0)
	v_fmac_f64_e32 v[82:83], v[20:21], v[0:1]
	scratch_load_dwordx2 v[0:1], off, off offset:560 ; 8-byte Folded Reload
	v_fmac_f64_e32 v[82:83], v[14:15], v[40:41]
	v_fmac_f64_e32 v[82:83], v[10:11], v[46:47]
	;; [unrolled: 1-line block ×6, first 2 shown]
	s_waitcnt vmcnt(0)
	v_fma_f64 v[92:93], v[96:97], v[0:1], 0
	scratch_load_dwordx2 v[0:1], off, off offset:2024 ; 8-byte Folded Reload
	s_waitcnt vmcnt(0)
	v_fmac_f64_e32 v[92:93], v[20:21], v[0:1]
	scratch_load_dwordx2 v[0:1], off, off offset:832 ; 8-byte Folded Reload
	v_fmac_f64_e32 v[92:93], v[14:15], v[94:95]
	v_fmac_f64_e32 v[92:93], v[10:11], v[28:29]
	s_waitcnt vmcnt(0)
	v_fmac_f64_e32 v[92:93], v[8:9], v[0:1]
	scratch_load_dwordx2 v[0:1], off, off offset:704 ; 8-byte Folded Reload
	v_fmac_f64_e32 v[92:93], v[2:3], v[44:45]
	v_fmac_f64_e32 v[92:93], v[6:7], v[50:51]
	;; [unrolled: 1-line block ×3, first 2 shown]
	s_waitcnt vmcnt(0)
	v_fma_f64 v[94:95], v[96:97], v[0:1], 0
	scratch_load_dwordx2 v[0:1], off, off offset:1112 ; 8-byte Folded Reload
	v_fma_f64 v[96:97], v[96:97], v[74:75], 0
	v_fmac_f64_e32 v[96:97], v[20:21], v[110:111]
	v_fmac_f64_e32 v[94:95], v[20:21], v[30:31]
	;; [unrolled: 1-line block ×8, first 2 shown]
	s_waitcnt vmcnt(0)
	v_fmac_f64_e32 v[96:97], v[14:15], v[0:1]
	scratch_load_dwordx2 v[0:1], off, off offset:592 ; 8-byte Folded Reload
	v_fmac_f64_e32 v[96:97], v[10:11], v[122:123]
	s_waitcnt vmcnt(0)
	v_fmac_f64_e32 v[96:97], v[8:9], v[0:1]
	scratch_load_dwordx2 v[0:1], off, off offset:1256 ; 8-byte Folded Reload
	s_waitcnt vmcnt(0)
	v_fmac_f64_e32 v[96:97], v[2:3], v[0:1]
	v_fmac_f64_e32 v[96:97], v[6:7], v[12:13]
	;; [unrolled: 1-line block ×3, first 2 shown]
	scratch_load_dwordx4 v[20:23], off, off offset:2088 ; 16-byte Folded Reload
	scratch_load_dwordx2 v[2:3], off, off offset:1672 ; 8-byte Folded Reload
	s_waitcnt vmcnt(0)
	v_add_f64 v[108:109], v[20:21], v[2:3]
	scratch_load_dwordx2 v[2:3], off, off offset:1888 ; 8-byte Folded Reload
	s_waitcnt vmcnt(0)
	v_add_f64 v[110:111], v[22:23], v[2:3]
	scratch_load_dwordx4 v[20:23], off, off offset:2072 ; 16-byte Folded Reload
	scratch_load_dwordx2 v[2:3], off, off offset:1944 ; 8-byte Folded Reload
	scratch_load_dwordx2 v[0:1], off, off offset:1424 ; 8-byte Folded Reload
	s_waitcnt vmcnt(1)
	v_add_f64 v[2:3], v[20:21], v[2:3]
	s_waitcnt vmcnt(0)
	v_add_f64 v[4:5], v[22:23], v[0:1]
	scratch_store_dwordx4 off, v[2:5], off offset:912 ; 16-byte Folded Spill
	scratch_load_dwordx4 v[20:23], off, off offset:2056 ; 16-byte Folded Reload
	scratch_load_dwordx2 v[0:1], off, off offset:1568 ; 8-byte Folded Reload
	s_waitcnt vmcnt(0)
	v_add_f64 v[2:3], v[20:21], v[0:1]
	scratch_load_dwordx2 v[0:1], off, off offset:1528 ; 8-byte Folded Reload
	s_waitcnt vmcnt(0)
	v_add_f64 v[4:5], v[22:23], v[0:1]
	scratch_load_dwordx4 v[20:23], off, off offset:2040 ; 16-byte Folded Reload
	s_nop 0
	scratch_store_dwordx4 off, v[2:5], off offset:896 ; 16-byte Folded Spill
	s_waitcnt vmcnt(1)
	s_nop 0
	v_add_f64 v[2:3], v[20:21], v[102:103]
	v_add_f64 v[4:5], v[22:23], v[84:85]
	scratch_store_dwordx4 off, v[2:5], off offset:976 ; 16-byte Folded Spill
	scratch_load_dwordx4 v[20:23], off, off offset:2152 ; 16-byte Folded Reload
	s_nop 0
	scratch_load_dwordx2 v[2:3], off, off offset:1664 ; 8-byte Folded Reload
	scratch_load_dwordx2 v[4:5], off, off offset:1440 ; 8-byte Folded Reload
	s_waitcnt vmcnt(1)
	v_add_f64 v[2:3], v[20:21], v[2:3]
	s_waitcnt vmcnt(0)
	v_add_f64 v[4:5], v[22:23], v[4:5]
	scratch_store_dwordx4 off, v[2:5], off offset:816 ; 16-byte Folded Spill
	scratch_load_dwordx4 v[20:23], off, off offset:2136 ; 16-byte Folded Reload
	s_nop 0
	scratch_load_dwordx2 v[2:3], off, off offset:1432 ; 8-byte Folded Reload
	scratch_load_dwordx2 v[0:1], off, off offset:1592 ; 8-byte Folded Reload
	s_waitcnt vmcnt(1)
	v_add_f64 v[14:15], v[20:21], v[2:3]
	s_waitcnt vmcnt(0)
	v_add_f64 v[16:17], v[22:23], v[0:1]
	scratch_load_dwordx4 v[20:23], off, off offset:2120 ; 16-byte Folded Reload
	scratch_load_dwordx2 v[0:1], off, off offset:1576 ; 8-byte Folded Reload
	s_waitcnt vmcnt(0)
	v_add_f64 v[10:11], v[20:21], v[0:1]
	scratch_load_dwordx2 v[0:1], off, off offset:1560 ; 8-byte Folded Reload
	s_waitcnt vmcnt(0)
	v_add_f64 v[12:13], v[22:23], v[0:1]
	scratch_load_dwordx4 v[20:23], off, off offset:2104 ; 16-byte Folded Reload
	s_waitcnt vmcnt(0)
	v_add_f64 v[2:3], v[20:21], v[98:99]
	v_add_f64 v[4:5], v[22:23], v[86:87]
	scratch_store_dwordx4 off, v[2:5], off offset:576 ; 16-byte Folded Spill
	scratch_load_dwordx4 v[20:23], off, off offset:2216 ; 16-byte Folded Reload
	scratch_load_dwordx2 v[0:1], off, off offset:1680 ; 8-byte Folded Reload
	s_waitcnt vmcnt(0)
	v_add_f64 v[2:3], v[20:21], v[0:1]
	scratch_load_dwordx2 v[4:5], off, off offset:1608 ; 8-byte Folded Reload
	s_waitcnt vmcnt(0)
	v_add_f64 v[4:5], v[22:23], v[4:5]
	scratch_store_dwordx4 off, v[2:5], off offset:672 ; 16-byte Folded Spill
	scratch_load_dwordx4 v[20:23], off, off offset:2200 ; 16-byte Folded Reload
	scratch_load_dwordx2 v[0:1], off, off offset:1960 ; 8-byte Folded Reload
	s_waitcnt vmcnt(0)
	v_add_f64 v[2:3], v[20:21], v[0:1]
	scratch_load_dwordx2 v[0:1], off, off offset:1904 ; 8-byte Folded Reload
	s_waitcnt vmcnt(0)
	v_add_f64 v[4:5], v[22:23], v[0:1]
	scratch_store_dwordx4 off, v[2:5], off offset:560 ; 16-byte Folded Spill
	scratch_load_dwordx4 v[20:23], off, off offset:2184 ; 16-byte Folded Reload
	scratch_load_dwordx2 v[0:1], off, off offset:1584 ; 8-byte Folded Reload
	s_waitcnt vmcnt(1)
	v_add_f64 v[8:9], v[22:23], v[126:127]
	s_waitcnt vmcnt(0)
	v_add_f64 v[6:7], v[20:21], v[0:1]
	scratch_load_dwordx4 v[20:23], off, off offset:2168 ; 16-byte Folded Reload
	s_waitcnt vmcnt(0)
	v_add_f64 v[2:3], v[20:21], v[112:113]
	v_add_f64 v[4:5], v[22:23], v[88:89]
	scratch_store_dwordx4 off, v[2:5], off offset:784 ; 16-byte Folded Spill
	scratch_load_dwordx4 v[20:23], off, off offset:2280 ; 16-byte Folded Reload
	scratch_load_dwordx2 v[0:1], off, off offset:1792 ; 8-byte Folded Reload
	s_waitcnt vmcnt(0)
	v_add_f64 v[2:3], v[20:21], v[0:1]
	scratch_load_dwordx2 v[4:5], off, off offset:1616 ; 8-byte Folded Reload
	s_waitcnt vmcnt(0)
	v_add_f64 v[4:5], v[22:23], v[4:5]
	scratch_store_dwordx4 off, v[2:5], off offset:768 ; 16-byte Folded Spill
	scratch_load_dwordx4 v[20:23], off, off offset:2264 ; 16-byte Folded Reload
	s_nop 0
	scratch_load_dwordx2 v[2:3], off, off offset:1600 ; 8-byte Folded Reload
	scratch_load_dwordx2 v[0:1], off, off offset:1920 ; 8-byte Folded Reload
	s_waitcnt vmcnt(1)
	v_add_f64 v[2:3], v[20:21], v[2:3]
	s_waitcnt vmcnt(0)
	v_add_f64 v[4:5], v[22:23], v[0:1]
	scratch_store_dwordx4 off, v[2:5], off offset:880 ; 16-byte Folded Spill
	scratch_load_dwordx4 v[20:23], off, off offset:2248 ; 16-byte Folded Reload
	scratch_load_dwordx2 v[0:1], off, off offset:1856 ; 8-byte Folded Reload
	s_waitcnt vmcnt(1)
	v_add_f64 v[4:5], v[22:23], v[124:125]
	s_waitcnt vmcnt(0)
	v_add_f64 v[2:3], v[20:21], v[0:1]
	scratch_load_dwordx4 v[20:23], off, off offset:2232 ; 16-byte Folded Reload
	s_nop 0
	scratch_store_dwordx4 off, v[2:5], off offset:752 ; 16-byte Folded Spill
	s_waitcnt vmcnt(1)
	s_nop 0
	v_add_f64 v[2:3], v[20:21], v[70:71]
	v_add_f64 v[4:5], v[22:23], v[90:91]
	scratch_store_dwordx4 off, v[2:5], off offset:864 ; 16-byte Folded Spill
	scratch_load_dwordx4 v[20:23], off, off offset:2344 ; 16-byte Folded Reload
	scratch_load_dwordx2 v[0:1], off, off offset:1872 ; 8-byte Folded Reload
	s_waitcnt vmcnt(0)
	v_add_f64 v[0:1], v[20:21], v[0:1]
	scratch_load_dwordx2 v[2:3], off, off offset:1632 ; 8-byte Folded Reload
	s_waitcnt vmcnt(0)
	v_add_f64 v[2:3], v[22:23], v[2:3]
	scratch_store_dwordx4 off, v[0:3], off offset:528 ; 16-byte Folded Spill
	scratch_load_dwordx4 v[20:23], off, off offset:2328 ; 16-byte Folded Reload
	s_nop 0
	scratch_load_dwordx2 v[2:3], off, off offset:1656 ; 8-byte Folded Reload
	s_waitcnt vmcnt(0)
	v_add_f64 v[0:1], v[20:21], v[2:3]
	scratch_load_dwordx2 v[2:3], off, off offset:1928 ; 8-byte Folded Reload
	s_waitcnt vmcnt(0)
	v_add_f64 v[2:3], v[22:23], v[2:3]
	scratch_store_dwordx4 off, v[0:3], off offset:592 ; 16-byte Folded Spill
	scratch_load_dwordx4 v[20:23], off, off offset:2312 ; 16-byte Folded Reload
	s_nop 0
	scratch_load_dwordx2 v[0:1], off, off offset:1864 ; 8-byte Folded Reload
	s_waitcnt vmcnt(1)
	v_add_f64 v[88:89], v[22:23], v[120:121]
	s_waitcnt vmcnt(0)
	v_add_f64 v[86:87], v[20:21], v[0:1]
	scratch_load_dwordx4 v[20:23], off, off offset:2296 ; 16-byte Folded Reload
	s_waitcnt vmcnt(0)
	v_add_f64 v[2:3], v[20:21], v[60:61]
	v_add_f64 v[4:5], v[22:23], v[82:83]
	scratch_store_dwordx4 off, v[2:5], off offset:512 ; 16-byte Folded Spill
	scratch_load_dwordx4 v[20:23], off, off offset:2408 ; 16-byte Folded Reload
	scratch_load_dwordx2 v[0:1], off, off offset:1880 ; 8-byte Folded Reload
	s_waitcnt vmcnt(0)
	v_add_f64 v[2:3], v[20:21], v[0:1]
	scratch_load_dwordx2 v[4:5], off, off offset:1640 ; 8-byte Folded Reload
	s_waitcnt vmcnt(0)
	v_add_f64 v[4:5], v[22:23], v[4:5]
	scratch_store_dwordx4 off, v[2:5], off offset:736 ; 16-byte Folded Spill
	scratch_load_dwordx4 v[20:23], off, off offset:2392 ; 16-byte Folded Reload
	scratch_load_dwordx2 v[0:1], off, off offset:1968 ; 8-byte Folded Reload
	s_waitcnt vmcnt(0)
	v_add_f64 v[2:3], v[20:21], v[0:1]
	scratch_load_dwordx2 v[0:1], off, off offset:1936 ; 8-byte Folded Reload
	s_waitcnt vmcnt(0)
	v_add_f64 v[4:5], v[22:23], v[0:1]
	scratch_store_dwordx4 off, v[2:5], off offset:848 ; 16-byte Folded Spill
	scratch_load_dwordx4 v[20:23], off, off offset:2376 ; 16-byte Folded Reload
	scratch_load_dwordx2 v[0:1], off, off offset:1896 ; 8-byte Folded Reload
	s_waitcnt vmcnt(1)
	v_add_f64 v[4:5], v[22:23], v[118:119]
	s_waitcnt vmcnt(0)
	v_add_f64 v[2:3], v[20:21], v[0:1]
	scratch_load_dwordx4 v[20:23], off, off offset:2360 ; 16-byte Folded Reload
	s_waitcnt vmcnt(0)
	v_add_f64 v[104:105], v[20:21], v[54:55]
	scratch_store_dwordx4 off, v[2:5], off offset:832 ; 16-byte Folded Spill
	v_add_f64 v[106:107], v[22:23], v[92:93]
	scratch_load_dwordx4 v[20:23], off, off offset:2472 ; 16-byte Folded Reload
	scratch_load_dwordx2 v[2:3], off, off offset:1624 ; 8-byte Folded Reload
	s_waitcnt vmcnt(0)
	v_add_f64 v[100:101], v[20:21], v[2:3]
	scratch_load_dwordx2 v[2:3], off, off offset:1648 ; 8-byte Folded Reload
	s_waitcnt vmcnt(0)
	v_add_f64 v[102:103], v[22:23], v[2:3]
	scratch_load_dwordx4 v[20:23], off, off offset:2456 ; 16-byte Folded Reload
	scratch_load_dwordx2 v[0:1], off, off offset:1976 ; 8-byte Folded Reload
	s_waitcnt vmcnt(0)
	v_add_f64 v[28:29], v[20:21], v[0:1]
	scratch_load_dwordx2 v[0:1], off, off offset:1952 ; 8-byte Folded Reload
	s_waitcnt vmcnt(0)
	v_add_f64 v[30:31], v[22:23], v[0:1]
	scratch_load_dwordx4 v[20:23], off, off offset:2440 ; 16-byte Folded Reload
	scratch_load_dwordx2 v[0:1], off, off offset:1912 ; 8-byte Folded Reload
	s_waitcnt vmcnt(1)
	v_add_f64 v[72:73], v[22:23], v[116:117]
	s_waitcnt vmcnt(0)
	v_add_f64 v[70:71], v[20:21], v[0:1]
	scratch_load_dwordx4 v[20:23], off, off offset:2424 ; 16-byte Folded Reload
	s_waitcnt vmcnt(0)
	v_add_f64 v[24:25], v[20:21], v[68:69]
	v_add_f64 v[26:27], v[22:23], v[94:95]
	scratch_load_dwordx4 v[20:23], off, off offset:2536 ; 16-byte Folded Reload
	scratch_load_dwordx2 v[2:3], off, off offset:1416 ; 8-byte Folded Reload
	s_waitcnt vmcnt(0)
	v_add_f64 v[32:33], v[20:21], v[2:3]
	scratch_load_dwordx2 v[2:3], off, off offset:1408 ; 8-byte Folded Reload
	s_waitcnt vmcnt(0)
	v_add_f64 v[34:35], v[22:23], v[2:3]
	scratch_load_dwordx4 v[20:23], off, off offset:2520 ; 16-byte Folded Reload
	scratch_load_dwordx2 v[0:1], off, off offset:1392 ; 8-byte Folded Reload
	s_waitcnt vmcnt(0)
	v_add_f64 v[42:43], v[20:21], v[0:1]
	scratch_load_dwordx2 v[0:1], off, off offset:1368 ; 8-byte Folded Reload
	s_waitcnt vmcnt(0)
	v_add_f64 v[44:45], v[22:23], v[0:1]
	scratch_load_dwordx4 v[18:21], off, off offset:2504 ; 16-byte Folded Reload
	scratch_load_dwordx2 v[0:1], off, off offset:1360 ; 8-byte Folded Reload
	scratch_load_dwordx2 v[2:3], off, off offset:1696 ; 8-byte Folded Reload
	;; [unrolled: 1-line block ×3, first 2 shown]
	s_waitcnt vmcnt(3)
	v_add_f64 v[76:77], v[20:21], v[114:115]
	s_waitcnt vmcnt(2)
	v_add_f64 v[74:75], v[18:19], v[0:1]
	scratch_load_dwordx4 v[18:21], off, off offset:2488 ; 16-byte Folded Reload
	s_waitcnt vmcnt(1)
	v_lshl_add_u64 v[22:23], v[22:23], 0, 8
	s_waitcnt vmcnt(0)
	v_add_f64 v[126:127], v[20:21], v[96:97]
	scratch_load_dwordx2 v[20:21], off, off offset:1704 ; 8-byte Folded Reload
	v_add_f64 v[124:125], v[18:19], v[80:81]
	v_lshl_add_u64 v[2:3], v[2:3], 0, 8
	scratch_store_dwordx4 off, v[32:35], off offset:496 ; 16-byte Folded Spill
	scratch_store_dwordx4 off, v[42:45], off offset:720 ; 16-byte Folded Spill
	s_waitcnt vmcnt(2)
	v_lshl_add_u64 v[20:21], v[20:21], 0, 8
	s_cbranch_scc1 .LBB0_36
; %bb.34:                               ;   in Loop: Header=BB0_21 Depth=1
	scratch_load_dwordx4 v[112:115], off, off offset:240 ; 16-byte Folded Reload
	scratch_load_dwordx4 v[38:41], off, off offset:208 ; 16-byte Folded Reload
	scratch_load_dwordx4 v[46:49], off, off ; 16-byte Folded Reload
	scratch_load_dwordx4 v[50:53], off, off offset:80 ; 16-byte Folded Reload
	scratch_load_dwordx4 v[34:37], off, off offset:64 ; 16-byte Folded Reload
	;; [unrolled: 1-line block ×6, first 2 shown]
	v_mov_b64_e32 v[94:95], v[108:109]
	scratch_store_dwordx4 off, v[10:13], off offset:688 ; 16-byte Folded Spill
	scratch_store_dwordx4 off, v[14:17], off offset:704 ; 16-byte Folded Spill
	v_mov_b64_e32 v[96:97], v[110:111]
	s_branch .LBB0_21
.LBB0_35:                               ;   in Loop: Header=BB0_21 Depth=1
                                        ; implicit-def: $vgpr2_vgpr3
	s_branch .LBB0_23
.LBB0_36:
	scratch_store_dwordx4 off, v[104:107], off offset:960 ; 16-byte Folded Spill
	scratch_store_dwordx4 off, v[100:103], off offset:656 ; 16-byte Folded Spill
	;; [unrolled: 1-line block ×5, first 2 shown]
	scratch_load_dwordx4 v[112:115], off, off offset:240 ; 16-byte Folded Reload
	s_nop 0
	scratch_load_dwordx4 v[26:29], off, off offset:304 ; 16-byte Folded Reload
	scratch_load_dwordx4 v[38:41], off, off offset:208 ; 16-byte Folded Reload
	;; [unrolled: 1-line block ×4, first 2 shown]
	scratch_load_dwordx4 v[46:49], off, off ; 16-byte Folded Reload
	scratch_load_dwordx4 v[34:37], off, off offset:64 ; 16-byte Folded Reload
	scratch_load_dwordx4 v[22:25], off, off offset:544 ; 16-byte Folded Reload
	;; [unrolled: 1-line block ×7, first 2 shown]
	scratch_load_dwordx2 v[2:3], off, off offset:2616 ; 8-byte Folded Reload
	scratch_load_dwordx2 v[4:5], off, off offset:2552 ; 8-byte Folded Reload
	scratch_load_dwordx4 v[82:85], off, off offset:336 ; 16-byte Folded Reload
	s_nop 0
	scratch_store_dwordx4 off, v[108:111], off offset:1008 ; 16-byte Folded Spill
	s_branch .LBB0_38
.LBB0_37:
	scratch_load_dwordx4 v[10:13], off, off offset:688 ; 16-byte Folded Reload
	scratch_load_dwordx4 v[14:17], off, off offset:704 ; 16-byte Folded Reload
.LBB0_38:
	s_waitcnt vmcnt(0)
	scratch_store_dwordx4 off, v[14:17], off offset:704 ; 16-byte Folded Spill
	scratch_store_dwordx4 off, v[10:13], off offset:688 ; 16-byte Folded Spill
	scratch_store_dwordx4 off, v[6:9], off offset:800 ; 16-byte Folded Spill
	scratch_load_dwordx4 v[94:97], off, off offset:976 ; 16-byte Folded Reload
	s_load_dwordx2 s[2:3], s[0:1], 0x70
; %bb.39:
	scratch_load_dwordx4 v[90:93], off, off offset:80 ; 16-byte Folded Reload
	v_lshl_add_u64 v[0:1], v[2:3], 3, s[8:9]
	s_cmp_lt_i32 s29, 1
	global_store_dwordx2 v[0:1], v[4:5], off
	s_cbranch_scc1 .LBB0_52
; %bb.40:
	s_load_dword s4, s[0:1], 0x78
	s_nop 0
	s_load_dwordx2 s[0:1], s[0:1], 0x80
	v_mul_lo_u32 v0, v2, s29
	v_ashrrev_i32_e32 v1, 31, v0
	s_cmp_lg_u32 s29, 0
	v_lshlrev_b64 v[0:1], 3, v[0:1]
	s_cselect_b64 vcc, -1, 0
	s_waitcnt lgkmcnt(0)
	s_bitcmp1_b32 s4, 0
	v_lshl_add_u64 v[18:19], s[2:3], 0, v[0:1]
	s_cselect_b64 s[2:3], -1, 0
	s_cmp_lg_u32 s28, 0
	v_lshl_add_u64 v[0:1], s[0:1], 0, v[0:1]
	s_cselect_b64 s[0:1], -1, 0
	scratch_store_dwordx2 off, v[0:1], off offset:992 ; 8-byte Folded Spill
	v_cndmask_b32_e64 v0, 0, 1, s[0:1]
	v_cndmask_b32_e32 v17, 0, v19, vcc
	v_cndmask_b32_e32 v16, 0, v18, vcc
	v_cmp_ne_u32_e64 s[0:1], 1, v0
	s_lshl_b32 s6, s28, 1
	s_branch .LBB0_43
.LBB0_41:                               ;   in Loop: Header=BB0_43 Depth=1
	s_waitcnt vmcnt(7)
	v_mov_b64_e32 v[110:111], v[96:97]
	v_mov_b64_e32 v[86:87], v[104:105]
	;; [unrolled: 1-line block ×4, first 2 shown]
.LBB0_42:                               ;   in Loop: Header=BB0_43 Depth=1
	scratch_load_dwordx4 v[18:21], off, off offset:480 ; 16-byte Folded Reload
	scratch_load_dwordx4 v[22:25], off, off offset:384 ; 16-byte Folded Reload
	;; [unrolled: 1-line block ×10, first 2 shown]
	s_add_i32 s29, s29, -1
	v_mov_b64_e32 v[94:95], v[108:109]
	s_waitcnt vmcnt(10)
	v_lshl_add_u64 v[16:17], v[16:17], 0, 8
	s_cmp_lg_u32 s29, 0
	v_mov_b64_e32 v[96:97], v[110:111]
	scratch_load_dwordx4 v[112:115], off, off offset:240 ; 16-byte Folded Reload
	scratch_load_dwordx4 v[12:15], off, off offset:208 ; 16-byte Folded Reload
	;; [unrolled: 1-line block ×7, first 2 shown]
	s_waitcnt vmcnt(16)
	v_fma_f64 v[32:33], v[54:55], v[18:19], 0
	s_waitcnt vmcnt(15)
	v_fmac_f64_e32 v[32:33], v[56:57], v[22:23]
	s_waitcnt vmcnt(13)
	v_fmac_f64_e32 v[32:33], v[58:59], v[26:27]
	v_fmac_f64_e32 v[32:33], v[60:61], v[0:1]
	s_waitcnt vmcnt(11)
	v_fmac_f64_e32 v[32:33], v[62:63], v[4:5]
	s_waitcnt vmcnt(10)
	;; [unrolled: 2-line block ×3, first 2 shown]
	v_fmac_f64_e32 v[32:33], v[66:67], v[34:35]
	v_fma_f64 v[34:35], v[54:55], v[20:21], 0
	v_fmac_f64_e32 v[34:35], v[56:57], v[24:25]
	scratch_load_dwordx4 v[18:21], off, off offset:224 ; 16-byte Folded Reload
	v_fmac_f64_e32 v[34:35], v[58:59], v[28:29]
	scratch_load_dwordx4 v[22:25], off, off offset:192 ; 16-byte Folded Reload
	v_fmac_f64_e32 v[34:35], v[60:61], v[2:3]
	v_fmac_f64_e32 v[34:35], v[62:63], v[6:7]
	scratch_load_dwordx4 v[4:7], off, off   ; 16-byte Folded Reload
	v_fmac_f64_e32 v[34:35], v[64:65], v[10:11]
	scratch_load_dwordx4 v[8:11], off, off offset:16 ; 16-byte Folded Reload
	scratch_load_dwordx4 v[0:3], off, off offset:48 ; 16-byte Folded Reload
	;; [unrolled: 1-line block ×3, first 2 shown]
	v_fmac_f64_e32 v[34:35], v[66:67], v[36:37]
	s_waitcnt vmcnt(5)
	v_fma_f64 v[36:37], v[54:55], v[18:19], 0
	s_waitcnt vmcnt(4)
	v_fmac_f64_e32 v[36:37], v[56:57], v[22:23]
	v_fmac_f64_e32 v[36:37], v[58:59], v[12:13]
	s_waitcnt vmcnt(3)
	v_fmac_f64_e32 v[36:37], v[60:61], v[4:5]
	s_waitcnt vmcnt(2)
	;; [unrolled: 2-line block ×4, first 2 shown]
	v_fmac_f64_e32 v[36:37], v[66:67], v[26:27]
	v_fmac_f64_e32 v[36:37], v[68:69], v[38:39]
	v_fma_f64 v[38:39], v[54:55], v[20:21], 0
	v_fmac_f64_e32 v[38:39], v[56:57], v[24:25]
	v_fmac_f64_e32 v[38:39], v[58:59], v[14:15]
	v_fmac_f64_e32 v[38:39], v[60:61], v[6:7]
	v_fmac_f64_e32 v[38:39], v[62:63], v[10:11]
	scratch_load_dwordx4 v[18:21], off, off offset:352 ; 16-byte Folded Reload
	v_fmac_f64_e32 v[38:39], v[64:65], v[2:3]
	scratch_load_dwordx4 v[0:3], off, off offset:320 ; 16-byte Folded Reload
	scratch_load_dwordx4 v[22:25], off, off offset:256 ; 16-byte Folded Reload
	v_fmac_f64_e32 v[38:39], v[66:67], v[28:29]
	scratch_load_dwordx4 v[26:29], off, off offset:144 ; 16-byte Folded Reload
	v_fmac_f64_e32 v[38:39], v[68:69], v[40:41]
	v_fmac_f64_e32 v[32:33], v[68:69], v[78:79]
	;; [unrolled: 1-line block ×3, first 2 shown]
	s_waitcnt vmcnt(3)
	v_fma_f64 v[40:41], v[54:55], v[18:19], 0
	s_waitcnt vmcnt(2)
	v_fmac_f64_e32 v[40:41], v[56:57], v[0:1]
	s_waitcnt vmcnt(1)
	v_fmac_f64_e32 v[40:41], v[58:59], v[22:23]
	v_fmac_f64_e32 v[40:41], v[60:61], v[70:71]
	v_fmac_f64_e32 v[40:41], v[62:63], v[90:91]
	s_waitcnt vmcnt(0)
	v_fmac_f64_e32 v[40:41], v[64:65], v[26:27]
	v_fmac_f64_e32 v[40:41], v[66:67], v[82:83]
	;; [unrolled: 1-line block ×3, first 2 shown]
	v_fma_f64 v[42:43], v[54:55], v[20:21], 0
	v_fmac_f64_e32 v[42:43], v[56:57], v[2:3]
	v_fmac_f64_e32 v[42:43], v[58:59], v[24:25]
	;; [unrolled: 1-line block ×3, first 2 shown]
	scratch_load_dwordx4 v[18:21], off, off offset:416 ; 16-byte Folded Reload
	scratch_load_dwordx4 v[22:25], off, off offset:544 ; 16-byte Folded Reload
	v_fmac_f64_e32 v[42:43], v[62:63], v[92:93]
	v_fmac_f64_e32 v[42:43], v[64:65], v[28:29]
	scratch_load_dwordx4 v[26:29], off, off offset:304 ; 16-byte Folded Reload
	v_fmac_f64_e32 v[42:43], v[66:67], v[84:85]
	v_fmac_f64_e32 v[42:43], v[68:69], v[44:45]
	v_mov_b64_e32 v[0:1], v[54:55]
	v_mov_b64_e32 v[2:3], v[56:57]
	;; [unrolled: 1-line block ×8, first 2 shown]
	s_waitcnt vmcnt(2)
	v_fma_f64 v[44:45], v[54:55], v[18:19], 0
	v_fmac_f64_e32 v[44:45], v[56:57], v[112:113]
	scratch_load_dwordx4 v[54:57], off, off offset:272 ; 16-byte Folded Reload
	s_waitcnt vmcnt(1)
	v_fmac_f64_e32 v[44:45], v[58:59], v[26:27]
	v_fmac_f64_e32 v[44:45], v[60:61], v[50:51]
	scratch_load_dwordx4 v[58:61], off, off offset:432 ; 16-byte Folded Reload
	v_fmac_f64_e32 v[44:45], v[62:63], v[46:47]
	v_fma_f64 v[46:47], v[0:1], v[20:21], 0
	v_fmac_f64_e32 v[46:47], v[2:3], v[114:115]
	v_fmac_f64_e32 v[46:47], v[4:5], v[28:29]
	;; [unrolled: 1-line block ×4, first 2 shown]
	s_waitcnt vmcnt(0)
	v_fmac_f64_e32 v[44:45], v[10:11], v[58:59]
	v_fmac_f64_e32 v[46:47], v[10:11], v[60:61]
	;; [unrolled: 1-line block ×6, first 2 shown]
	s_set_gpr_idx_on s6, gpr_idx(SRC0)
	v_mov_b32_e32 v1, v33
	v_mov_b32_e32 v0, v32
	s_set_gpr_idx_off
	scratch_load_dwordx2 v[18:19], off, off offset:1688 ; 8-byte Folded Reload
	s_waitcnt vmcnt(0)
	v_add_f64 v[0:1], v[18:19], v[0:1]
	s_set_gpr_idx_on s6, gpr_idx(DST)
	v_mov_b32_e32 v32, v0
	v_mov_b32_e32 v33, v1
	s_set_gpr_idx_off
	scratch_load_dwordx2 v[0:1], off, off offset:992 ; 8-byte Folded Reload
	v_mov_b64_e32 v[68:69], v[46:47]
	v_mov_b64_e32 v[66:67], v[44:45]
	;; [unrolled: 1-line block ×8, first 2 shown]
	s_waitcnt vmcnt(0)
	v_lshl_add_u64 v[0:1], v[0:1], 0, 8
	scratch_store_dwordx2 off, v[0:1], off offset:992 ; 8-byte Folded Spill
	s_cbranch_scc0 .LBB0_52
.LBB0_43:                               ; =>This Inner Loop Header: Depth=1
	scratch_load_dwordx4 v[38:41], off, off offset:592 ; 16-byte Folded Reload
	v_mov_b64_e32 v[106:107], v[88:89]
	v_mov_b64_e32 v[104:105], v[86:87]
	s_and_b64 vcc, exec, s[0:1]
	s_cbranch_vccnz .LBB0_45
; %bb.44:                               ;   in Loop: Header=BB0_43 Depth=1
	scratch_load_dwordx4 v[0:3], off, off offset:1280 ; 16-byte Folded Reload
	scratch_load_dwordx4 v[4:7], off, off offset:1296 ; 16-byte Folded Reload
	;; [unrolled: 1-line block ×4, first 2 shown]
	s_mov_b64 s[4:5], 0
	s_waitcnt vmcnt(3)
	v_fma_f64 v[0:1], v[54:55], v[0:1], 0
	v_fmac_f64_e32 v[0:1], v[56:57], v[2:3]
	s_waitcnt vmcnt(2)
	v_fmac_f64_e32 v[0:1], v[58:59], v[4:5]
	v_fmac_f64_e32 v[0:1], v[60:61], v[6:7]
	s_waitcnt vmcnt(1)
	v_fmac_f64_e32 v[0:1], v[62:63], v[8:9]
	v_fmac_f64_e32 v[0:1], v[64:65], v[10:11]
	s_waitcnt vmcnt(0)
	v_fmac_f64_e32 v[0:1], v[66:67], v[12:13]
	v_fmac_f64_e32 v[0:1], v[68:69], v[14:15]
	global_store_dwordx2 v[16:17], v[0:1], off
	s_branch .LBB0_46
.LBB0_45:                               ;   in Loop: Header=BB0_43 Depth=1
	s_mov_b64 s[4:5], -1
.LBB0_46:                               ;   in Loop: Header=BB0_43 Depth=1
	scratch_load_dwordx4 v[18:21], off, off offset:192 ; 16-byte Folded Reload
	scratch_load_dwordx4 v[90:93], off, off offset:384 ; 16-byte Folded Reload
	;; [unrolled: 1-line block ×3, first 2 shown]
	s_andn2_b64 vcc, exec, s[4:5]
	s_cbranch_vccnz .LBB0_48
; %bb.47:                               ;   in Loop: Header=BB0_43 Depth=1
	global_store_dwordx2 v[16:17], v[54:55], off
.LBB0_48:                               ;   in Loop: Header=BB0_43 Depth=1
	s_andn2_b64 vcc, exec, s[2:3]
	s_cbranch_vccnz .LBB0_41
; %bb.49:                               ;   in Loop: Header=BB0_43 Depth=1
	scratch_store_dwordx2 off, v[16:17], off offset:976 ; 8-byte Folded Spill
	scratch_store_dwordx4 off, v[54:57], off offset:1048 ; 16-byte Folded Spill
	s_nop 0
	scratch_store_dwordx4 off, v[58:61], off offset:1064 ; 16-byte Folded Spill
	scratch_store_dwordx4 off, v[62:65], off offset:1080 ; 16-byte Folded Spill
	;; [unrolled: 1-line block ×3, first 2 shown]
	scratch_load_dwordx4 v[110:113], off, off offset:1008 ; 16-byte Folded Reload
	scratch_load_dwordx4 v[22:25], off, off offset:608 ; 16-byte Folded Reload
	;; [unrolled: 1-line block ×8, first 2 shown]
	v_mov_b64_e32 v[102:103], v[104:105]
	v_mov_b64_e32 v[104:105], v[106:107]
	scratch_load_dwordx4 v[78:81], off, off offset:512 ; 16-byte Folded Reload
	scratch_load_dwordx4 v[106:109], off, off offset:528 ; 16-byte Folded Reload
	;; [unrolled: 1-line block ×3, first 2 shown]
	s_and_b64 vcc, exec, s[0:1]
	scratch_store_dwordx4 off, v[124:127], off offset:928 ; 16-byte Folded Spill
	scratch_load_dwordx4 v[124:127], off, off offset:880 ; 16-byte Folded Reload
	s_nop 0
	scratch_load_dwordx4 v[54:57], off, off offset:672 ; 16-byte Folded Reload
	s_waitcnt vmcnt(13)
	v_mov_b64_e32 v[48:49], v[110:111]
	scratch_store_dwordx4 off, v[74:77], off offset:944 ; 16-byte Folded Spill
	scratch_load_dwordx4 v[68:71], off, off offset:896 ; 16-byte Folded Reload
	scratch_load_dwordx4 v[64:67], off, off offset:912 ; 16-byte Folded Reload
	s_nop 0
	scratch_load_dwordx4 v[72:75], off, off offset:496 ; 16-byte Folded Reload
	s_cbranch_vccnz .LBB0_51
; %bb.50:                               ;   in Loop: Header=BB0_43 Depth=1
	scratch_load_dwordx4 v[2:5], off, off offset:1280 ; 16-byte Folded Reload
	scratch_load_dwordx4 v[6:9], off, off offset:1296 ; 16-byte Folded Reload
	;; [unrolled: 1-line block ×7, first 2 shown]
	s_waitcnt vmcnt(6)
	v_mul_f64 v[0:1], v[2:3], v[110:111]
	v_fma_f64 v[48:49], v[2:3], v[0:1], 0
	s_waitcnt vmcnt(2)
	v_mul_f64 v[0:1], v[2:3], v[34:35]
	v_fmac_f64_e32 v[48:49], v[4:5], v[0:1]
	v_mul_f64 v[0:1], v[2:3], v[54:55]
	v_fmac_f64_e32 v[48:49], v[6:7], v[0:1]
	s_waitcnt vmcnt(1)
	v_mul_f64 v[0:1], v[2:3], v[44:45]
	scratch_load_dwordx4 v[42:45], off, off offset:736 ; 16-byte Folded Reload
	v_fmac_f64_e32 v[48:49], v[8:9], v[0:1]
	v_mul_f64 v[0:1], v[2:3], v[106:107]
	v_fmac_f64_e32 v[48:49], v[10:11], v[0:1]
	s_waitcnt vmcnt(0)
	v_mul_f64 v[0:1], v[2:3], v[42:43]
	v_fmac_f64_e32 v[48:49], v[12:13], v[0:1]
	v_mul_f64 v[0:1], v[2:3], v[30:31]
	v_fmac_f64_e32 v[48:49], v[14:15], v[0:1]
	;; [unrolled: 2-line block ×7, first 2 shown]
	v_mul_f64 v[0:1], v[4:5], v[108:109]
	scratch_load_dwordx4 v[34:37], off, off offset:704 ; 16-byte Folded Reload
	v_fmac_f64_e32 v[48:49], v[10:11], v[0:1]
	v_mul_f64 v[0:1], v[4:5], v[44:45]
	scratch_load_dwordx4 v[44:47], off, off offset:560 ; 16-byte Folded Reload
	v_fmac_f64_e32 v[48:49], v[12:13], v[0:1]
	v_mul_f64 v[0:1], v[4:5], v[32:33]
	v_fmac_f64_e32 v[48:49], v[14:15], v[0:1]
	v_mul_f64 v[0:1], v[4:5], v[74:75]
	;; [unrolled: 2-line block ×3, first 2 shown]
	v_fmac_f64_e32 v[48:49], v[2:3], v[0:1]
	s_waitcnt vmcnt(1)
	v_mul_f64 v[0:1], v[6:7], v[34:35]
	v_fmac_f64_e32 v[48:49], v[4:5], v[0:1]
	s_waitcnt vmcnt(0)
	v_mul_f64 v[0:1], v[6:7], v[44:45]
	scratch_load_dwordx4 v[42:45], off, off offset:720 ; 16-byte Folded Reload
	v_fmac_f64_e32 v[48:49], v[6:7], v[0:1]
	v_mul_f64 v[0:1], v[6:7], v[124:125]
	v_fmac_f64_e32 v[48:49], v[8:9], v[0:1]
	v_mul_f64 v[0:1], v[6:7], v[38:39]
	;; [unrolled: 2-line block ×4, first 2 shown]
	v_fmac_f64_e32 v[48:49], v[14:15], v[0:1]
	s_waitcnt vmcnt(0)
	v_mul_f64 v[0:1], v[6:7], v[42:43]
	v_fmac_f64_e32 v[48:49], v[16:17], v[0:1]
	v_mul_f64 v[0:1], v[8:9], v[66:67]
	v_fmac_f64_e32 v[48:49], v[2:3], v[0:1]
	;; [unrolled: 2-line block ×7, first 2 shown]
	v_mul_f64 v[0:1], v[8:9], v[52:53]
	scratch_load_dwordx4 v[34:37], off, off offset:688 ; 16-byte Folded Reload
	v_fmac_f64_e32 v[48:49], v[14:15], v[0:1]
	v_mul_f64 v[0:1], v[8:9], v[44:45]
	scratch_load_dwordx4 v[44:47], off, off offset:800 ; 16-byte Folded Reload
	v_fmac_f64_e32 v[48:49], v[16:17], v[0:1]
	v_mul_f64 v[0:1], v[10:11], v[68:69]
	v_fmac_f64_e32 v[48:49], v[2:3], v[0:1]
	s_waitcnt vmcnt(1)
	v_mul_f64 v[0:1], v[10:11], v[34:35]
	v_fmac_f64_e32 v[48:49], v[4:5], v[0:1]
	s_waitcnt vmcnt(0)
	v_mul_f64 v[0:1], v[10:11], v[44:45]
	scratch_load_dwordx4 v[42:45], off, off offset:752 ; 16-byte Folded Reload
	v_fmac_f64_e32 v[48:49], v[6:7], v[0:1]
	s_waitcnt vmcnt(0)
	v_mul_f64 v[0:1], v[10:11], v[42:43]
	v_fmac_f64_e32 v[48:49], v[8:9], v[0:1]
	v_mul_f64 v[0:1], v[10:11], v[102:103]
	v_fmac_f64_e32 v[48:49], v[10:11], v[0:1]
	;; [unrolled: 2-line block ×12, first 2 shown]
	v_mul_f64 v[0:1], v[12:13], v[100:101]
	scratch_load_dwordx4 v[98:101], off, off offset:576 ; 16-byte Folded Reload
	scratch_load_dwordx4 v[44:47], off, off offset:784 ; 16-byte Folded Reload
	v_fmac_f64_e32 v[48:49], v[16:17], v[0:1]
	v_mul_f64 v[0:1], v[14:15], v[94:95]
	v_fmac_f64_e32 v[48:49], v[2:3], v[0:1]
	s_waitcnt vmcnt(1)
	v_mul_f64 v[0:1], v[14:15], v[98:99]
	v_fmac_f64_e32 v[48:49], v[4:5], v[0:1]
	s_waitcnt vmcnt(0)
	v_mul_f64 v[0:1], v[14:15], v[44:45]
	scratch_load_dwordx4 v[42:45], off, off offset:928 ; 16-byte Folded Reload
	v_fmac_f64_e32 v[48:49], v[6:7], v[0:1]
	v_mul_f64 v[0:1], v[14:15], v[114:115]
	v_fmac_f64_e32 v[48:49], v[8:9], v[0:1]
	v_mul_f64 v[0:1], v[14:15], v[78:79]
	;; [unrolled: 2-line block ×4, first 2 shown]
	v_fmac_f64_e32 v[48:49], v[14:15], v[0:1]
	s_waitcnt vmcnt(0)
	v_mul_f64 v[0:1], v[14:15], v[42:43]
	v_fmac_f64_e32 v[48:49], v[16:17], v[0:1]
	v_mul_f64 v[0:1], v[16:17], v[96:97]
	v_fmac_f64_e32 v[48:49], v[2:3], v[0:1]
	v_mul_f64 v[0:1], v[16:17], v[100:101]
	v_fmac_f64_e32 v[48:49], v[4:5], v[0:1]
	v_mul_f64 v[0:1], v[16:17], v[46:47]
	v_fmac_f64_e32 v[48:49], v[6:7], v[0:1]
	v_mul_f64 v[0:1], v[16:17], v[116:117]
	v_fmac_f64_e32 v[48:49], v[8:9], v[0:1]
	v_mul_f64 v[0:1], v[16:17], v[80:81]
	v_fmac_f64_e32 v[48:49], v[10:11], v[0:1]
	v_mul_f64 v[0:1], v[16:17], v[62:63]
	v_fmac_f64_e32 v[48:49], v[12:13], v[0:1]
	v_mul_f64 v[0:1], v[16:17], v[24:25]
	v_fmac_f64_e32 v[48:49], v[14:15], v[0:1]
	v_mul_f64 v[0:1], v[16:17], v[44:45]
	v_fmac_f64_e32 v[48:49], v[16:17], v[0:1]
.LBB0_51:                               ;   in Loop: Header=BB0_43 Depth=1
	scratch_load_dwordx4 v[0:3], off, off offset:480 ; 16-byte Folded Reload
	v_mov_b64_e32 v[46:47], v[40:41]
	s_waitcnt vmcnt(17)
	scratch_store_dwordx4 off, v[22:25], off offset:608 ; 16-byte Folded Spill
	v_mov_b64_e32 v[44:45], v[38:39]
	s_waitcnt vmcnt(1)
	v_fma_f64 v[4:5], v[0:1], v[110:111], 0
	v_fma_f64 v[24:25], v[2:3], v[110:111], 0
	scratch_load_dwordx4 v[0:3], off, off offset:224 ; 16-byte Folded Reload
	v_fmac_f64_e32 v[4:5], v[90:91], v[112:113]
	v_fmac_f64_e32 v[24:25], v[92:93], v[112:113]
	s_waitcnt vmcnt(0)
	v_fma_f64 v[22:23], v[0:1], v[110:111], 0
	v_fma_f64 v[16:17], v[2:3], v[110:111], 0
	scratch_load_dwordx4 v[0:3], off, off offset:352 ; 16-byte Folded Reload
	v_fmac_f64_e32 v[22:23], v[18:19], v[112:113]
	v_fmac_f64_e32 v[16:17], v[20:21], v[112:113]
	s_waitcnt vmcnt(0)
	v_mov_b64_e32 v[8:9], v[2:3]
	v_fma_f64 v[14:15], v[0:1], v[110:111], 0
	v_mov_b64_e32 v[6:7], v[0:1]
	scratch_load_dwordx4 v[0:3], off, off offset:320 ; 16-byte Folded Reload
	s_nop 0
	scratch_store_dwordx4 off, v[72:75], off offset:496 ; 16-byte Folded Spill
	scratch_store_dwordx4 off, v[106:109], off offset:528 ; 16-byte Folded Spill
	v_fma_f64 v[12:13], v[8:9], v[110:111], 0
	scratch_load_dwordx4 v[106:109], off, off offset:416 ; 16-byte Folded Reload
	v_mov_b64_e32 v[74:75], v[62:63]
	scratch_store_dwordx4 off, v[78:81], off offset:512 ; 16-byte Folded Spill
	v_mov_b64_e32 v[72:73], v[60:61]
	s_waitcnt vmcnt(4)
	v_fmac_f64_e32 v[14:15], v[0:1], v[112:113]
	v_fmac_f64_e32 v[12:13], v[2:3], v[112:113]
	scratch_load_dwordx4 v[0:3], off, off offset:240 ; 16-byte Folded Reload
	s_waitcnt vmcnt(2)
	v_fma_f64 v[10:11], v[106:107], v[110:111], 0
	v_fma_f64 v[8:9], v[108:109], v[110:111], 0
	s_waitcnt vmcnt(0)
	v_fmac_f64_e32 v[10:11], v[0:1], v[112:113]
	v_fmac_f64_e32 v[8:9], v[2:3], v[112:113]
	scratch_load_dwordx4 v[0:3], off, off offset:112 ; 16-byte Folded Reload
	s_nop 0
	scratch_store_dwordx4 off, v[30:33], off offset:656 ; 16-byte Folded Spill
	scratch_store_dwordx4 off, v[50:53], off offset:640 ; 16-byte Folded Spill
	scratch_load_dwordx4 v[76:79], off, off offset:304 ; 16-byte Folded Reload
	scratch_load_dwordx4 v[18:21], off, off offset:464 ; 16-byte Folded Reload
	v_mov_b64_e32 v[50:51], v[4:5]
	scratch_load_dwordx4 v[4:7], off, off offset:368 ; 16-byte Folded Reload
	scratch_load_dwordx4 v[60:63], off, off offset:448 ; 16-byte Folded Reload
	;; [unrolled: 1-line block ×6, first 2 shown]
	s_waitcnt vmcnt(10)
	v_fmac_f64_e32 v[50:51], v[0:1], v[64:65]
	v_fmac_f64_e32 v[24:25], v[2:3], v[64:65]
	scratch_load_dwordx4 v[0:3], off, off offset:208 ; 16-byte Folded Reload
	s_waitcnt vmcnt(8)
	v_fmac_f64_e32 v[10:11], v[76:77], v[64:65]
	v_fmac_f64_e32 v[8:9], v[78:79], v[64:65]
	s_waitcnt vmcnt(6)
	v_fmac_f64_e32 v[50:51], v[4:5], v[66:67]
	v_fmac_f64_e32 v[24:25], v[6:7], v[66:67]
	v_mov_b64_e32 v[4:5], v[54:55]
	v_mov_b64_e32 v[6:7], v[56:57]
	scratch_load_dwordx4 v[54:57], off, off ; 16-byte Folded Reload
	s_waitcnt vmcnt(5)
	v_fmac_f64_e32 v[10:11], v[30:31], v[66:67]
	v_fmac_f64_e32 v[8:9], v[32:33], v[66:67]
	v_mov_b64_e32 v[42:43], v[50:51]
	v_mov_b64_e32 v[50:51], v[82:83]
	;; [unrolled: 1-line block ×3, first 2 shown]
	scratch_load_dwordx4 v[82:85], off, off offset:144 ; 16-byte Folded Reload
	v_mov_b64_e32 v[32:33], v[114:115]
	v_mov_b64_e32 v[34:35], v[116:117]
	scratch_load_dwordx4 v[116:119], off, off offset:160 ; 16-byte Folded Reload
	s_waitcnt vmcnt(3)
	v_fmac_f64_e32 v[22:23], v[0:1], v[64:65]
	v_fmac_f64_e32 v[16:17], v[2:3], v[64:65]
	scratch_load_dwordx4 v[0:3], off, off offset:256 ; 16-byte Folded Reload
	s_waitcnt vmcnt(3)
	v_fmac_f64_e32 v[22:23], v[54:55], v[66:67]
	v_fmac_f64_e32 v[16:17], v[56:57], v[66:67]
	;; [unrolled: 1-line block ×4, first 2 shown]
	scratch_store_dwordx4 off, v[26:29], off offset:624 ; 16-byte Folded Spill
	scratch_load_dwordx4 v[38:41], off, off offset:128 ; 16-byte Folded Reload
	s_waitcnt vmcnt(2)
	v_fmac_f64_e32 v[14:15], v[0:1], v[64:65]
	v_fmac_f64_e32 v[12:13], v[2:3], v[64:65]
	;; [unrolled: 1-line block ×4, first 2 shown]
	scratch_load_dwordx4 v[64:67], off, off offset:32 ; 16-byte Folded Reload
	v_mov_b64_e32 v[2:3], v[10:11]
	v_mov_b64_e32 v[0:1], v[8:9]
	scratch_load_dwordx4 v[8:11], off, off offset:64 ; 16-byte Folded Reload
	v_mov_b64_e32 v[18:19], v[124:125]
	v_mov_b64_e32 v[26:27], v[54:55]
	;; [unrolled: 1-line block ×4, first 2 shown]
	s_waitcnt vmcnt(2)
	v_fmac_f64_e32 v[2:3], v[38:39], v[68:69]
	v_fmac_f64_e32 v[0:1], v[40:41], v[68:69]
	s_waitcnt vmcnt(1)
	v_fmac_f64_e32 v[42:43], v[64:65], v[68:69]
	v_fmac_f64_e32 v[24:25], v[66:67], v[68:69]
	;; [unrolled: 3-line block ×3, first 2 shown]
	scratch_load_dwordx4 v[8:11], off, off offset:48 ; 16-byte Folded Reload
	v_mov_b64_e32 v[36:37], v[24:25]
	v_fmac_f64_e32 v[42:43], v[116:117], v[94:95]
	v_fmac_f64_e32 v[36:37], v[118:119], v[94:95]
	s_waitcnt vmcnt(0)
	v_fmac_f64_e32 v[22:23], v[8:9], v[70:71]
	v_fmac_f64_e32 v[16:17], v[10:11], v[70:71]
	scratch_load_dwordx4 v[8:11], off, off offset:80 ; 16-byte Folded Reload
	v_mov_b64_e32 v[30:31], v[22:23]
	v_mov_b64_e32 v[24:25], v[16:17]
	s_waitcnt vmcnt(0)
	v_fmac_f64_e32 v[14:15], v[8:9], v[68:69]
	v_fmac_f64_e32 v[14:15], v[82:83], v[70:71]
	v_mov_b64_e32 v[22:23], v[14:15]
	scratch_load_dwordx4 v[14:17], off, off offset:432 ; 16-byte Folded Reload
	v_fmac_f64_e32 v[12:13], v[10:11], v[68:69]
	v_fmac_f64_e32 v[12:13], v[84:85], v[70:71]
	s_waitcnt vmcnt(0)
	v_fmac_f64_e32 v[2:3], v[14:15], v[70:71]
	v_fmac_f64_e32 v[0:1], v[16:17], v[70:71]
	scratch_load_dwordx4 v[14:17], off, off offset:336 ; 16-byte Folded Reload
	v_fmac_f64_e32 v[24:25], v[62:63], v[94:95]
	v_fmac_f64_e32 v[24:25], v[122:123], v[96:97]
	scratch_load_dwordx4 v[68:71], off, off offset:400 ; 16-byte Folded Reload
	v_fmac_f64_e32 v[30:31], v[60:61], v[94:95]
	scratch_store_dwordx2 off, v[24:25], off offset:1160 ; 8-byte Folded Spill
	v_fmac_f64_e32 v[30:31], v[120:121], v[96:97]
	scratch_store_dwordx2 off, v[30:31], off offset:1192 ; 8-byte Folded Spill
	s_waitcnt vmcnt(3)
	v_fmac_f64_e32 v[22:23], v[14:15], v[94:95]
	v_fmac_f64_e32 v[22:23], v[90:91], v[96:97]
	;; [unrolled: 1-line block ×3, first 2 shown]
	scratch_load_dwordx4 v[14:17], off, off offset:544 ; 16-byte Folded Reload
	v_fmac_f64_e32 v[12:13], v[92:93], v[96:97]
	scratch_store_dwordx2 off, v[22:23], off offset:1024 ; 8-byte Folded Spill
	scratch_load_dwordx4 v[22:25], off, off offset:272 ; 16-byte Folded Reload
	s_waitcnt vmcnt(5)
	v_fmac_f64_e32 v[42:43], v[68:69], v[96:97]
	v_fmac_f64_e32 v[36:37], v[70:71], v[96:97]
	scratch_store_dwordx2 off, v[42:43], off offset:1168 ; 8-byte Folded Spill
	scratch_store_dwordx2 off, v[36:37], off offset:1128 ; 8-byte Folded Spill
	;; [unrolled: 1-line block ×3, first 2 shown]
	s_waitcnt vmcnt(5)
	v_fmac_f64_e32 v[2:3], v[14:15], v[94:95]
	v_fmac_f64_e32 v[0:1], v[16:17], v[94:95]
	s_waitcnt vmcnt(3)
	v_fmac_f64_e32 v[2:3], v[22:23], v[96:97]
	v_fmac_f64_e32 v[0:1], v[24:25], v[96:97]
	scratch_store_dwordx2 off, v[2:3], off offset:912 ; 8-byte Folded Spill
	scratch_store_dwordx2 off, v[0:1], off offset:896 ; 8-byte Folded Spill
	scratch_load_dwordx4 v[56:59], off, off offset:816 ; 16-byte Folded Reload
	scratch_load_dwordx4 v[94:97], off, off offset:480 ; 16-byte Folded Reload
	;; [unrolled: 1-line block ×5, first 2 shown]
	v_mov_b64_e32 v[0:1], v[64:65]
	v_mov_b64_e32 v[2:3], v[66:67]
	scratch_load_dwordx4 v[38:41], off, off offset:320 ; 16-byte Folded Reload
	scratch_load_dwordx4 v[112:115], off, off offset:240 ; 16-byte Folded Reload
	s_waitcnt vmcnt(6)
	v_fma_f64 v[30:31], v[106:107], v[56:57], 0
	s_waitcnt vmcnt(5)
	v_fma_f64 v[110:111], v[94:95], v[56:57], 0
	v_fma_f64 v[36:37], v[96:97], v[56:57], 0
	s_waitcnt vmcnt(2)
	v_fma_f64 v[80:81], v[22:23], v[56:57], 0
	v_fma_f64 v[64:65], v[24:25], v[56:57], 0
	scratch_load_dwordx4 v[22:25], off, off offset:352 ; 16-byte Folded Reload
	v_fma_f64 v[12:13], v[108:109], v[56:57], 0
	v_fmac_f64_e32 v[110:111], v[98:99], v[58:59]
	v_fmac_f64_e32 v[36:37], v[100:101], v[58:59]
	;; [unrolled: 1-line block ×4, first 2 shown]
	s_waitcnt vmcnt(1)
	v_fmac_f64_e32 v[30:31], v[112:113], v[58:59]
	v_fmac_f64_e32 v[12:13], v[114:115], v[58:59]
	s_waitcnt vmcnt(0)
	v_fma_f64 v[54:55], v[22:23], v[56:57], 0
	v_fma_f64 v[42:43], v[24:25], v[56:57], 0
	v_fmac_f64_e32 v[54:55], v[38:39], v[58:59]
	scratch_load_dwordx4 v[22:25], off, off offset:736 ; 16-byte Folded Reload
	v_fmac_f64_e32 v[42:43], v[40:41], v[58:59]
	scratch_load_dwordx4 v[38:41], off, off offset:704 ; 16-byte Folded Reload
	scratch_load_dwordx4 v[56:59], off, off offset:112 ; 16-byte Folded Reload
	;; [unrolled: 1-line block ×3, first 2 shown]
	s_waitcnt vmcnt(2)
	v_fmac_f64_e32 v[30:31], v[76:77], v[38:39]
	s_waitcnt vmcnt(1)
	v_fmac_f64_e32 v[110:111], v[56:57], v[38:39]
	v_fmac_f64_e32 v[36:37], v[58:59], v[38:39]
	scratch_load_dwordx4 v[56:59], off, off offset:208 ; 16-byte Folded Reload
	v_fmac_f64_e32 v[12:13], v[78:79], v[38:39]
	s_waitcnt vmcnt(0)
	v_fmac_f64_e32 v[80:81], v[56:57], v[38:39]
	v_fmac_f64_e32 v[64:65], v[58:59], v[38:39]
	;; [unrolled: 1-line block ×4, first 2 shown]
	scratch_load_dwordx4 v[26:29], off, off offset:256 ; 16-byte Folded Reload
	scratch_load_dwordx4 v[56:59], off, off offset:464 ; 16-byte Folded Reload
	s_waitcnt vmcnt(1)
	v_fmac_f64_e32 v[54:55], v[26:27], v[38:39]
	v_fmac_f64_e32 v[42:43], v[28:29], v[38:39]
	scratch_load_dwordx4 v[26:29], off, off offset:176 ; 16-byte Folded Reload
	s_waitcnt vmcnt(1)
	v_fmac_f64_e32 v[54:55], v[56:57], v[40:41]
	v_fmac_f64_e32 v[42:43], v[58:59], v[40:41]
	s_waitcnt vmcnt(0)
	v_fmac_f64_e32 v[30:31], v[26:27], v[40:41]
	v_fmac_f64_e32 v[12:13], v[28:29], v[40:41]
	scratch_load_dwordx4 v[26:29], off, off offset:64 ; 16-byte Folded Reload
	v_fmac_f64_e32 v[110:111], v[94:95], v[40:41]
	v_fmac_f64_e32 v[36:37], v[96:97], v[40:41]
	scratch_load_dwordx4 v[38:41], off, off offset:688 ; 16-byte Folded Reload
	s_waitcnt vmcnt(0)
	v_fmac_f64_e32 v[110:111], v[0:1], v[38:39]
	v_fmac_f64_e32 v[36:37], v[2:3], v[38:39]
	;; [unrolled: 1-line block ×4, first 2 shown]
	scratch_load_dwordx4 v[26:29], off, off offset:16 ; 16-byte Folded Reload
	scratch_load_dwordx4 v[0:3], off, off offset:48 ; 16-byte Folded Reload
	v_fmac_f64_e32 v[54:55], v[8:9], v[38:39]
	v_fmac_f64_e32 v[42:43], v[10:11], v[38:39]
	;; [unrolled: 1-line block ×4, first 2 shown]
	s_waitcnt vmcnt(1)
	v_fmac_f64_e32 v[80:81], v[26:27], v[38:39]
	v_fmac_f64_e32 v[64:65], v[28:29], v[38:39]
	scratch_load_dwordx4 v[26:29], off, off offset:128 ; 16-byte Folded Reload
	s_waitcnt vmcnt(1)
	v_fmac_f64_e32 v[80:81], v[0:1], v[40:41]
	v_fmac_f64_e32 v[64:65], v[2:3], v[40:41]
	scratch_load_dwordx4 v[0:3], off, off offset:432 ; 16-byte Folded Reload
	s_waitcnt vmcnt(1)
	v_fmac_f64_e32 v[30:31], v[26:27], v[38:39]
	v_fmac_f64_e32 v[12:13], v[28:29], v[38:39]
	v_mov_b64_e32 v[26:27], v[120:121]
	s_waitcnt vmcnt(0)
	v_fmac_f64_e32 v[30:31], v[0:1], v[40:41]
	v_fmac_f64_e32 v[12:13], v[2:3], v[40:41]
	scratch_load_dwordx4 v[38:41], off, off offset:576 ; 16-byte Folded Reload
	scratch_load_dwordx4 v[0:3], off, off offset:336 ; 16-byte Folded Reload
	v_mov_b64_e32 v[28:29], v[122:123]
	scratch_load_dwordx4 v[120:123], off, off offset:320 ; 16-byte Folded Reload
	s_waitcnt vmcnt(2)
	v_fmac_f64_e32 v[110:111], v[116:117], v[38:39]
	v_fmac_f64_e32 v[36:37], v[118:119], v[38:39]
	scratch_load_dwordx4 v[116:119], off, off offset:272 ; 16-byte Folded Reload
	s_waitcnt vmcnt(2)
	v_fmac_f64_e32 v[54:55], v[0:1], v[38:39]
	v_fmac_f64_e32 v[42:43], v[2:3], v[38:39]
	scratch_load_dwordx4 v[0:3], off, off offset:480 ; 16-byte Folded Reload
	v_fmac_f64_e32 v[80:81], v[60:61], v[38:39]
	v_fmac_f64_e32 v[12:13], v[16:17], v[38:39]
	;; [unrolled: 1-line block ×4, first 2 shown]
	scratch_store_dwordx2 off, v[36:37], off offset:1136 ; 8-byte Folded Spill
	scratch_store_dwordx2 off, v[80:81], off offset:1200 ; 8-byte Folded Spill
	v_fmac_f64_e32 v[30:31], v[14:15], v[38:39]
	v_fmac_f64_e32 v[64:65], v[62:63], v[38:39]
	;; [unrolled: 1-line block ×6, first 2 shown]
	scratch_store_dwordx2 off, v[42:43], off offset:816 ; 8-byte Folded Spill
	scratch_store_dwordx2 off, v[64:65], off offset:1184 ; 8-byte Folded Spill
	;; [unrolled: 1-line block ×3, first 2 shown]
	scratch_load_dwordx4 v[62:65], off, off offset:720 ; 16-byte Folded Reload
	v_mov_b64_e32 v[54:55], v[94:95]
	v_mov_b64_e32 v[56:57], v[96:97]
	s_waitcnt vmcnt(7)
	v_fmac_f64_e32 v[12:13], v[118:119], v[40:41]
	scratch_store_dwordx2 off, v[12:13], off offset:576 ; 8-byte Folded Spill
	scratch_load_dwordx4 v[12:15], off, off offset:224 ; 16-byte Folded Reload
	s_waitcnt vmcnt(8)
	v_fma_f64 v[36:37], v[0:1], v[4:5], 0
	v_fma_f64 v[80:81], v[2:3], v[4:5], 0
	scratch_load_dwordx4 v[0:3], off, off offset:352 ; 16-byte Folded Reload
	v_fmac_f64_e32 v[30:31], v[116:117], v[40:41]
	v_mov_b64_e32 v[42:43], v[10:11]
	scratch_store_dwordx2 off, v[30:31], off offset:704 ; 8-byte Folded Spill
	v_fmac_f64_e32 v[36:37], v[98:99], v[6:7]
	v_fmac_f64_e32 v[80:81], v[100:101], v[6:7]
	v_mov_b64_e32 v[40:41], v[8:9]
	v_mov_b64_e32 v[100:101], v[70:71]
	;; [unrolled: 1-line block ×3, first 2 shown]
	s_waitcnt vmcnt(2)
	v_fma_f64 v[12:13], v[12:13], v[4:5], 0
	v_fma_f64 v[38:39], v[14:15], v[4:5], 0
	v_fmac_f64_e32 v[12:13], v[124:125], v[6:7]
	s_waitcnt vmcnt(1)
	v_fma_f64 v[30:31], v[0:1], v[4:5], 0
	v_fma_f64 v[8:9], v[2:3], v[4:5], 0
	;; [unrolled: 1-line block ×4, first 2 shown]
	v_fmac_f64_e32 v[38:39], v[126:127], v[6:7]
	v_fmac_f64_e32 v[30:31], v[120:121], v[6:7]
	v_fmac_f64_e32 v[8:9], v[122:123], v[6:7]
	v_fmac_f64_e32 v[2:3], v[112:113], v[6:7]
	v_fmac_f64_e32 v[0:1], v[114:115], v[6:7]
	scratch_load_dwordx4 v[66:69], off, off offset:560 ; 16-byte Folded Reload
	scratch_load_dwordx4 v[4:7], off, off offset:112 ; 16-byte Folded Reload
	;; [unrolled: 1-line block ×5, first 2 shown]
	s_waitcnt vmcnt(4)
	v_fmac_f64_e32 v[0:1], v[78:79], v[66:67]
	s_waitcnt vmcnt(3)
	v_fmac_f64_e32 v[36:37], v[4:5], v[66:67]
	v_fmac_f64_e32 v[80:81], v[6:7], v[66:67]
	scratch_load_dwordx4 v[4:7], off, off   ; 16-byte Folded Reload
	s_waitcnt vmcnt(3)
	v_fmac_f64_e32 v[12:13], v[82:83], v[66:67]
	v_fmac_f64_e32 v[38:39], v[84:85], v[66:67]
	s_waitcnt vmcnt(2)
	v_fmac_f64_e32 v[8:9], v[16:17], v[66:67]
	v_fmac_f64_e32 v[30:31], v[14:15], v[66:67]
	;; [unrolled: 1-line block ×4, first 2 shown]
	s_waitcnt vmcnt(1)
	v_fmac_f64_e32 v[0:1], v[60:61], v[68:69]
	s_waitcnt vmcnt(0)
	v_fmac_f64_e32 v[12:13], v[4:5], v[68:69]
	v_fmac_f64_e32 v[38:39], v[6:7], v[68:69]
	scratch_load_dwordx4 v[4:7], off, off offset:464 ; 16-byte Folded Reload
	s_waitcnt vmcnt(0)
	v_fmac_f64_e32 v[8:9], v[6:7], v[68:69]
	v_mov_b64_e32 v[6:7], v[2:3]
	v_fmac_f64_e32 v[6:7], v[76:77], v[66:67]
	v_fmac_f64_e32 v[30:31], v[4:5], v[68:69]
	;; [unrolled: 1-line block ×3, first 2 shown]
	scratch_load_dwordx4 v[66:69], off, off offset:800 ; 16-byte Folded Reload
	scratch_load_dwordx4 v[14:17], off, off offset:32 ; 16-byte Folded Reload
	scratch_load_dwordx4 v[2:5], off, off offset:64 ; 16-byte Folded Reload
	scratch_load_dwordx4 v[94:97], off, off offset:48 ; 16-byte Folded Reload
	s_waitcnt vmcnt(3)
	v_fmac_f64_e32 v[30:31], v[40:41], v[66:67]
	s_waitcnt vmcnt(2)
	v_fmac_f64_e32 v[36:37], v[14:15], v[66:67]
	v_fmac_f64_e32 v[80:81], v[16:17], v[66:67]
	scratch_load_dwordx4 v[14:17], off, off offset:128 ; 16-byte Folded Reload
	s_waitcnt vmcnt(2)
	v_fmac_f64_e32 v[36:37], v[2:3], v[68:69]
	v_fmac_f64_e32 v[80:81], v[4:5], v[68:69]
	scratch_load_dwordx4 v[2:5], off, off offset:16 ; 16-byte Folded Reload
	v_fmac_f64_e32 v[8:9], v[42:43], v[66:67]
	s_waitcnt vmcnt(1)
	v_fmac_f64_e32 v[6:7], v[14:15], v[66:67]
	v_fmac_f64_e32 v[0:1], v[16:17], v[66:67]
	s_waitcnt vmcnt(0)
	v_fmac_f64_e32 v[12:13], v[2:3], v[66:67]
	v_fmac_f64_e32 v[38:39], v[4:5], v[66:67]
	scratch_load_dwordx4 v[2:5], off, off offset:144 ; 16-byte Folded Reload
	v_fmac_f64_e32 v[12:13], v[94:95], v[68:69]
	v_fmac_f64_e32 v[38:39], v[96:97], v[68:69]
	s_waitcnt vmcnt(0)
	v_fmac_f64_e32 v[30:31], v[2:3], v[68:69]
	v_fmac_f64_e32 v[8:9], v[4:5], v[68:69]
	scratch_load_dwordx4 v[2:5], off, off offset:432 ; 16-byte Folded Reload
	s_waitcnt vmcnt(0)
	v_fmac_f64_e32 v[6:7], v[2:3], v[68:69]
	v_fmac_f64_e32 v[0:1], v[4:5], v[68:69]
	scratch_load_dwordx4 v[14:17], off, off offset:784 ; 16-byte Folded Reload
	scratch_load_dwordx4 v[2:5], off, off offset:160 ; 16-byte Folded Reload
	;; [unrolled: 1-line block ×4, first 2 shown]
	s_waitcnt vmcnt(2)
	v_fmac_f64_e32 v[36:37], v[2:3], v[14:15]
	v_fmac_f64_e32 v[80:81], v[4:5], v[14:15]
	scratch_load_dwordx4 v[2:5], off, off offset:544 ; 16-byte Folded Reload
	s_waitcnt vmcnt(2)
	v_fmac_f64_e32 v[12:13], v[124:125], v[14:15]
	v_fmac_f64_e32 v[38:39], v[126:127], v[14:15]
	s_waitcnt vmcnt(1)
	v_fmac_f64_e32 v[30:31], v[106:107], v[14:15]
	v_fmac_f64_e32 v[8:9], v[108:109], v[14:15]
	v_fmac_f64_e32 v[80:81], v[100:101], v[16:17]
	v_fmac_f64_e32 v[12:13], v[26:27], v[16:17]
	v_fmac_f64_e32 v[38:39], v[28:29], v[16:17]
	v_fmac_f64_e32 v[30:31], v[90:91], v[16:17]
	v_fmac_f64_e32 v[8:9], v[92:93], v[16:17]
	scratch_store_dwordx2 off, v[80:81], off offset:1152 ; 8-byte Folded Spill
	scratch_store_dwordx2 off, v[12:13], off offset:1216 ; 8-byte Folded Spill
	;; [unrolled: 1-line block ×5, first 2 shown]
	v_mov_b64_e32 v[78:79], v[112:113]
	v_mov_b64_e32 v[80:81], v[114:115]
	;; [unrolled: 1-line block ×7, first 2 shown]
	v_fmac_f64_e32 v[36:37], v[98:99], v[16:17]
	v_mov_b64_e32 v[90:91], v[58:59]
	s_waitcnt vmcnt(5)
	v_fmac_f64_e32 v[6:7], v[2:3], v[14:15]
	v_fmac_f64_e32 v[0:1], v[4:5], v[14:15]
	;; [unrolled: 1-line block ×4, first 2 shown]
	scratch_store_dwordx2 off, v[6:7], off offset:688 ; 8-byte Folded Spill
	scratch_store_dwordx2 off, v[0:1], off offset:560 ; 8-byte Folded Spill
	scratch_load_dwordx4 v[2:5], off, off offset:480 ; 16-byte Folded Reload
	scratch_load_dwordx4 v[112:115], off, off offset:768 ; 16-byte Folded Reload
	s_waitcnt vmcnt(0)
	v_fma_f64 v[68:69], v[2:3], v[112:113], 0
	scratch_load_dwordx4 v[0:3], off, off offset:384 ; 16-byte Folded Reload
	v_fma_f64 v[28:29], v[4:5], v[112:113], 0
	scratch_load_dwordx4 v[4:7], off, off offset:192 ; 16-byte Folded Reload
	s_waitcnt vmcnt(1)
	v_fmac_f64_e32 v[68:69], v[0:1], v[114:115]
	v_fmac_f64_e32 v[28:29], v[2:3], v[114:115]
	scratch_load_dwordx4 v[0:3], off, off offset:224 ; 16-byte Folded Reload
	s_waitcnt vmcnt(0)
	v_fma_f64 v[30:31], v[2:3], v[112:113], 0
	v_fmac_f64_e32 v[30:31], v[6:7], v[114:115]
	scratch_load_dwordx4 v[6:9], off, off offset:352 ; 16-byte Folded Reload
	v_fma_f64 v[38:39], v[0:1], v[112:113], 0
	v_fmac_f64_e32 v[38:39], v[4:5], v[114:115]
	scratch_load_dwordx4 v[2:5], off, off offset:928 ; 16-byte Folded Reload
	v_fmac_f64_e32 v[38:39], v[10:11], v[18:19]
	v_fmac_f64_e32 v[30:31], v[12:13], v[18:19]
	s_waitcnt vmcnt(1)
	v_mov_b64_e32 v[96:97], v[8:9]
	v_fma_f64 v[26:27], v[6:7], v[112:113], 0
	v_fma_f64 v[16:17], v[8:9], v[112:113], 0
	v_mov_b64_e32 v[94:95], v[6:7]
	scratch_load_dwordx4 v[6:9], off, off offset:944 ; 16-byte Folded Reload
	scratch_load_dwordx4 v[58:61], off, off offset:416 ; 16-byte Folded Reload
	v_fmac_f64_e32 v[26:27], v[120:121], v[114:115]
	v_fmac_f64_e32 v[16:17], v[122:123], v[114:115]
	scratch_load_dwordx4 v[10:13], off, off offset:464 ; 16-byte Folded Reload
	scratch_load_dwordx4 v[120:123], off, off offset:304 ; 16-byte Folded Reload
	s_waitcnt vmcnt(2)
	v_fma_f64 v[14:15], v[58:59], v[112:113], 0
	v_fma_f64 v[0:1], v[60:61], v[112:113], 0
	scratch_load_dwordx4 v[58:61], off, off offset:112 ; 16-byte Folded Reload
	v_fmac_f64_e32 v[14:15], v[78:79], v[114:115]
	v_fmac_f64_e32 v[0:1], v[80:81], v[114:115]
	scratch_load_dwordx4 v[112:115], off, off ; 16-byte Folded Reload
	s_waitcnt vmcnt(2)
	v_fmac_f64_e32 v[14:15], v[120:121], v[18:19]
	v_fmac_f64_e32 v[0:1], v[122:123], v[18:19]
	v_mov_b64_e32 v[118:119], v[120:121]
	v_fmac_f64_e32 v[14:15], v[90:91], v[20:21]
	v_fmac_f64_e32 v[0:1], v[92:93], v[20:21]
	v_mov_b64_e32 v[120:121], v[122:123]
	s_waitcnt vmcnt(1)
	v_fmac_f64_e32 v[68:69], v[58:59], v[18:19]
	v_fmac_f64_e32 v[28:29], v[60:61], v[18:19]
	scratch_load_dwordx4 v[58:61], off, off offset:256 ; 16-byte Folded Reload
	v_fmac_f64_e32 v[68:69], v[54:55], v[20:21]
	v_fmac_f64_e32 v[28:29], v[56:57], v[20:21]
	s_waitcnt vmcnt(1)
	v_fmac_f64_e32 v[38:39], v[112:113], v[20:21]
	v_fmac_f64_e32 v[30:31], v[114:115], v[20:21]
	s_waitcnt vmcnt(0)
	v_fmac_f64_e32 v[26:27], v[58:59], v[18:19]
	v_fmac_f64_e32 v[16:17], v[60:61], v[18:19]
	;; [unrolled: 1-line block ×4, first 2 shown]
	scratch_load_dwordx4 v[58:61], off, off offset:752 ; 16-byte Folded Reload
	scratch_load_dwordx4 v[10:13], off, off offset:32 ; 16-byte Folded Reload
	;; [unrolled: 1-line block ×4, first 2 shown]
	s_waitcnt vmcnt(3)
	v_fmac_f64_e32 v[26:27], v[40:41], v[58:59]
	s_waitcnt vmcnt(2)
	v_fmac_f64_e32 v[68:69], v[10:11], v[58:59]
	v_fmac_f64_e32 v[28:29], v[12:13], v[58:59]
	scratch_load_dwordx4 v[10:13], off, off offset:16 ; 16-byte Folded Reload
	v_fmac_f64_e32 v[16:17], v[42:43], v[58:59]
	s_waitcnt vmcnt(2)
	v_fmac_f64_e32 v[68:69], v[76:77], v[60:61]
	v_fmac_f64_e32 v[28:29], v[78:79], v[60:61]
	s_waitcnt vmcnt(0)
	v_fmac_f64_e32 v[38:39], v[10:11], v[58:59]
	v_fmac_f64_e32 v[30:31], v[12:13], v[58:59]
	scratch_load_dwordx4 v[10:13], off, off offset:144 ; 16-byte Folded Reload
	v_fmac_f64_e32 v[38:39], v[82:83], v[60:61]
	v_fmac_f64_e32 v[30:31], v[84:85], v[60:61]
	;; [unrolled: 1-line block ×4, first 2 shown]
	s_waitcnt vmcnt(0)
	v_fmac_f64_e32 v[26:27], v[10:11], v[60:61]
	v_fmac_f64_e32 v[16:17], v[12:13], v[60:61]
	scratch_load_dwordx4 v[10:13], off, off offset:128 ; 16-byte Folded Reload
	v_fmac_f64_e32 v[16:17], v[108:109], v[32:33]
	v_fmac_f64_e32 v[26:27], v[106:107], v[32:33]
	s_waitcnt vmcnt(0)
	v_fmac_f64_e32 v[14:15], v[10:11], v[58:59]
	v_fmac_f64_e32 v[0:1], v[12:13], v[58:59]
	;; [unrolled: 1-line block ×4, first 2 shown]
	scratch_load_dwordx4 v[10:13], off, off offset:160 ; 16-byte Folded Reload
	scratch_load_dwordx4 v[18:21], off, off offset:96 ; 16-byte Folded Reload
	s_waitcnt vmcnt(1)
	v_fmac_f64_e32 v[68:69], v[10:11], v[32:33]
	s_waitcnt vmcnt(0)
	v_fmac_f64_e32 v[38:39], v[18:19], v[34:35]
	v_fmac_f64_e32 v[30:31], v[20:21], v[34:35]
	scratch_load_dwordx4 v[18:21], off, off offset:288 ; 16-byte Folded Reload
	v_fmac_f64_e32 v[28:29], v[12:13], v[32:33]
	scratch_load_dwordx4 v[10:13], off, off offset:272 ; 16-byte Folded Reload
	v_fmac_f64_e32 v[68:69], v[98:99], v[34:35]
	scratch_store_dwordx2 off, v[38:39], off offset:1224 ; 8-byte Folded Spill
	scratch_store_dwordx2 off, v[30:31], off offset:1208 ; 8-byte Folded Spill
	v_fmac_f64_e32 v[28:29], v[100:101], v[34:35]
	s_waitcnt vmcnt(3)
	v_fmac_f64_e32 v[16:17], v[20:21], v[34:35]
	v_fmac_f64_e32 v[26:27], v[18:19], v[34:35]
	scratch_store_dwordx2 off, v[16:17], off offset:784 ; 8-byte Folded Spill
	scratch_load_dwordx4 v[16:19], off, off offset:544 ; 16-byte Folded Reload
	s_waitcnt vmcnt(0)
	v_fmac_f64_e32 v[14:15], v[16:17], v[32:33]
	v_fmac_f64_e32 v[0:1], v[18:19], v[32:33]
	;; [unrolled: 1-line block ×4, first 2 shown]
	scratch_store_dwordx2 off, v[26:27], off offset:1120 ; 8-byte Folded Spill
	scratch_store_dwordx2 off, v[14:15], off offset:752 ; 8-byte Folded Spill
	;; [unrolled: 1-line block ×3, first 2 shown]
	scratch_load_dwordx4 v[10:13], off, off offset:528 ; 16-byte Folded Reload
	scratch_load_dwordx4 v[106:109], off, off offset:480 ; 16-byte Folded Reload
	;; [unrolled: 1-line block ×4, first 2 shown]
	s_waitcnt vmcnt(3)
	v_fma_f64 v[42:43], v[94:95], v[10:11], 0
	s_waitcnt vmcnt(2)
	v_fma_f64 v[116:117], v[106:107], v[10:11], 0
	v_fma_f64 v[60:61], v[108:109], v[10:11], 0
	s_waitcnt vmcnt(1)
	v_fmac_f64_e32 v[116:117], v[30:31], v[12:13]
	v_fmac_f64_e32 v[60:61], v[32:33], v[12:13]
	scratch_load_dwordx4 v[30:33], off, off offset:224 ; 16-byte Folded Reload
	scratch_load_dwordx4 v[122:125], off, off offset:320 ; 16-byte Folded Reload
	scratch_load_dwordx4 v[14:17], off, off offset:496 ; 16-byte Folded Reload
	scratch_load_dwordx4 v[18:21], off, off offset:416 ; 16-byte Folded Reload
	v_fma_f64 v[66:67], v[108:109], v[22:23], 0
	s_waitcnt vmcnt(3)
	v_fma_f64 v[58:59], v[30:31], v[10:11], 0
	v_fma_f64 v[32:33], v[32:33], v[10:11], 0
	v_fmac_f64_e32 v[58:59], v[38:39], v[12:13]
	v_fmac_f64_e32 v[32:33], v[40:41], v[12:13]
	v_mov_b64_e32 v[38:39], v[76:77]
	v_mov_b64_e32 v[40:41], v[78:79]
	scratch_load_dwordx4 v[76:79], off, off offset:240 ; 16-byte Folded Reload
	s_waitcnt vmcnt(1)
	v_fma_f64 v[26:27], v[18:19], v[10:11], 0
	v_fma_f64 v[0:1], v[20:21], v[10:11], 0
	scratch_load_dwordx4 v[18:21], off, off offset:256 ; 16-byte Folded Reload
	v_fma_f64 v[30:31], v[96:97], v[10:11], 0
	v_fmac_f64_e32 v[42:43], v[122:123], v[12:13]
	v_fmac_f64_e32 v[30:31], v[124:125], v[12:13]
	v_fma_f64 v[122:123], v[106:107], v[22:23], 0
	v_fma_f64 v[70:71], v[106:107], v[14:15], 0
	s_waitcnt vmcnt(1)
	v_fmac_f64_e32 v[26:27], v[76:77], v[12:13]
	v_fmac_f64_e32 v[0:1], v[78:79], v[12:13]
	scratch_load_dwordx4 v[10:13], off, off offset:112 ; 16-byte Folded Reload
	s_waitcnt vmcnt(1)
	v_fmac_f64_e32 v[42:43], v[18:19], v[44:45]
	v_fmac_f64_e32 v[30:31], v[20:21], v[44:45]
	scratch_load_dwordx4 v[18:21], off, off offset:32 ; 16-byte Folded Reload
	v_fmac_f64_e32 v[26:27], v[118:119], v[44:45]
	v_fmac_f64_e32 v[0:1], v[120:121], v[44:45]
	;; [unrolled: 1-line block ×4, first 2 shown]
	v_mov_b64_e32 v[120:121], v[100:101]
	v_mov_b64_e32 v[118:119], v[98:99]
	s_waitcnt vmcnt(1)
	v_fmac_f64_e32 v[116:117], v[10:11], v[44:45]
	v_fmac_f64_e32 v[60:61], v[12:13], v[44:45]
	scratch_load_dwordx4 v[10:13], off, off offset:208 ; 16-byte Folded Reload
	v_fmac_f64_e32 v[116:117], v[54:55], v[46:47]
	v_fmac_f64_e32 v[60:61], v[56:57], v[46:47]
	s_waitcnt vmcnt(1)
	v_fmac_f64_e32 v[116:117], v[18:19], v[102:103]
	v_fmac_f64_e32 v[60:61], v[20:21], v[102:103]
	scratch_load_dwordx4 v[18:21], off, off offset:16 ; 16-byte Folded Reload
	v_fmac_f64_e32 v[116:117], v[38:39], v[104:105]
	v_fmac_f64_e32 v[60:61], v[40:41], v[104:105]
	s_waitcnt vmcnt(1)
	v_fmac_f64_e32 v[32:33], v[12:13], v[44:45]
	v_mov_b64_e32 v[96:97], v[12:13]
	v_fmac_f64_e32 v[32:33], v[114:115], v[46:47]
	v_fmac_f64_e32 v[58:59], v[10:11], v[44:45]
	v_mov_b64_e32 v[94:95], v[10:11]
	v_mov_b64_e32 v[10:11], v[32:33]
	s_waitcnt vmcnt(0)
	v_fmac_f64_e32 v[10:11], v[20:21], v[102:103]
	scratch_load_dwordx4 v[32:35], off, off offset:464 ; 16-byte Folded Reload
	v_fmac_f64_e32 v[10:11], v[84:85], v[104:105]
	v_fmac_f64_e32 v[58:59], v[112:113], v[46:47]
	v_mov_b64_e32 v[38:39], v[10:11]
	scratch_load_dwordx4 v[10:13], off, off offset:80 ; 16-byte Folded Reload
	v_fmac_f64_e32 v[58:59], v[18:19], v[102:103]
	scratch_load_dwordx4 v[18:21], off, off offset:144 ; 16-byte Folded Reload
	v_fmac_f64_e32 v[58:59], v[82:83], v[104:105]
	s_waitcnt vmcnt(2)
	v_fmac_f64_e32 v[42:43], v[32:33], v[46:47]
	v_fmac_f64_e32 v[30:31], v[34:35], v[46:47]
	s_waitcnt vmcnt(1)
	v_fmac_f64_e32 v[42:43], v[10:11], v[102:103]
	v_fmac_f64_e32 v[30:31], v[12:13], v[102:103]
	scratch_load_dwordx4 v[10:13], off, off offset:128 ; 16-byte Folded Reload
	s_waitcnt vmcnt(1)
	v_fmac_f64_e32 v[42:43], v[18:19], v[104:105]
	v_fmac_f64_e32 v[30:31], v[20:21], v[104:105]
	scratch_load_dwordx4 v[18:21], off, off offset:432 ; 16-byte Folded Reload
	s_waitcnt vmcnt(1)
	v_fmac_f64_e32 v[26:27], v[10:11], v[102:103]
	v_fmac_f64_e32 v[0:1], v[12:13], v[102:103]
	s_waitcnt vmcnt(0)
	v_fmac_f64_e32 v[26:27], v[18:19], v[104:105]
	v_fmac_f64_e32 v[0:1], v[20:21], v[104:105]
	scratch_load_dwordx4 v[102:105], off, off offset:160 ; 16-byte Folded Reload
	scratch_load_dwordx4 v[54:57], off, off offset:512 ; 16-byte Folded Reload
	scratch_load_dwordx4 v[10:13], off, off offset:448 ; 16-byte Folded Reload
	scratch_load_dwordx4 v[18:21], off, off offset:288 ; 16-byte Folded Reload
	scratch_load_dwordx4 v[124:127], off, off offset:272 ; 16-byte Folded Reload
	scratch_load_dwordx4 v[76:79], off, off offset:96 ; 16-byte Folded Reload
	scratch_load_dwordx4 v[90:93], off, off offset:320 ; 16-byte Folded Reload
	scratch_load_dwordx4 v[112:115], off, off offset:368 ; 16-byte Folded Reload
	s_waitcnt vmcnt(6)
	v_fmac_f64_e32 v[116:117], v[102:103], v[54:55]
	s_waitcnt vmcnt(5)
	v_fmac_f64_e32 v[58:59], v[10:11], v[54:55]
	v_fmac_f64_e32 v[38:39], v[12:13], v[54:55]
	scratch_load_dwordx4 v[10:13], off, off offset:336 ; 16-byte Folded Reload
	v_fmac_f64_e32 v[60:61], v[104:105], v[54:55]
	v_fmac_f64_e32 v[116:117], v[98:99], v[56:57]
	v_fmac_f64_e32 v[60:61], v[100:101], v[56:57]
	v_mov_b64_e32 v[100:101], v[96:97]
	v_mov_b64_e32 v[98:99], v[94:95]
	scratch_load_dwordx4 v[94:97], off, off ; 16-byte Folded Reload
	s_waitcnt vmcnt(1)
	v_fmac_f64_e32 v[42:43], v[10:11], v[54:55]
	v_fmac_f64_e32 v[30:31], v[12:13], v[54:55]
	scratch_load_dwordx4 v[10:13], off, off offset:544 ; 16-byte Folded Reload
	v_fmac_f64_e32 v[42:43], v[18:19], v[56:57]
	scratch_store_dwordx2 off, v[42:43], off offset:1144 ; 8-byte Folded Spill
	v_mov_b64_e32 v[44:45], v[20:21]
	v_fmac_f64_e32 v[30:31], v[20:21], v[56:57]
	v_mov_b64_e32 v[42:43], v[18:19]
	scratch_load_dwordx4 v[18:21], off, off offset:224 ; 16-byte Folded Reload
	s_waitcnt vmcnt(2)
	v_fmac_f64_e32 v[26:27], v[10:11], v[54:55]
	v_fmac_f64_e32 v[0:1], v[12:13], v[54:55]
	scratch_load_dwordx4 v[10:13], off, off offset:384 ; 16-byte Folded Reload
	v_fmac_f64_e32 v[26:27], v[124:125], v[56:57]
	scratch_store_dwordx2 off, v[26:27], off offset:768 ; 8-byte Folded Spill
	v_fmac_f64_e32 v[0:1], v[126:127], v[56:57]
	s_waitcnt vmcnt(2)
	v_fma_f64 v[26:27], v[18:19], v[22:23], 0
	scratch_store_dwordx2 off, v[30:31], off offset:864 ; 8-byte Folded Spill
	scratch_store_dwordx2 off, v[0:1], off offset:512 ; 8-byte Folded Spill
	s_waitcnt vmcnt(3)
	v_fmac_f64_e32 v[122:123], v[10:11], v[24:25]
	v_fmac_f64_e32 v[66:67], v[12:13], v[24:25]
	scratch_load_dwordx4 v[10:13], off, off offset:192 ; 16-byte Folded Reload
	v_fmac_f64_e32 v[58:59], v[76:77], v[56:57]
	v_fmac_f64_e32 v[38:39], v[78:79], v[56:57]
	v_fma_f64 v[56:57], v[20:21], v[22:23], 0
	scratch_store_dwordx2 off, v[38:39], off offset:1232 ; 8-byte Folded Spill
	scratch_load_dwordx4 v[38:41], off, off offset:416 ; 16-byte Folded Reload
	s_waitcnt vmcnt(2)
	v_fmac_f64_e32 v[26:27], v[10:11], v[24:25]
	v_fmac_f64_e32 v[56:57], v[12:13], v[24:25]
	scratch_load_dwordx4 v[10:13], off, off offset:352 ; 16-byte Folded Reload
	v_fmac_f64_e32 v[26:27], v[98:99], v[86:87]
	v_fmac_f64_e32 v[56:57], v[100:101], v[86:87]
	s_waitcnt vmcnt(1)
	v_fma_f64 v[20:21], v[38:39], v[22:23], 0
	v_fma_f64 v[0:1], v[40:41], v[22:23], 0
	s_waitcnt vmcnt(0)
	v_fma_f64 v[18:19], v[10:11], v[22:23], 0
	v_fma_f64 v[30:31], v[12:13], v[22:23], 0
	scratch_load_dwordx4 v[10:13], off, off offset:240 ; 16-byte Folded Reload
	v_fmac_f64_e32 v[18:19], v[90:91], v[24:25]
	v_fmac_f64_e32 v[30:31], v[92:93], v[24:25]
	s_waitcnt vmcnt(0)
	v_fmac_f64_e32 v[20:21], v[10:11], v[24:25]
	v_fmac_f64_e32 v[0:1], v[12:13], v[24:25]
	scratch_load_dwordx4 v[10:13], off, off offset:112 ; 16-byte Folded Reload
	scratch_load_dwordx4 v[22:25], off, off offset:176 ; 16-byte Folded Reload
	s_waitcnt vmcnt(1)
	v_fmac_f64_e32 v[122:123], v[10:11], v[86:87]
	v_fmac_f64_e32 v[66:67], v[12:13], v[86:87]
	scratch_load_dwordx4 v[10:13], off, off offset:256 ; 16-byte Folded Reload
	v_fmac_f64_e32 v[122:123], v[112:113], v[88:89]
	v_fmac_f64_e32 v[66:67], v[114:115], v[88:89]
	s_waitcnt vmcnt(0)
	v_fmac_f64_e32 v[18:19], v[10:11], v[86:87]
	v_fmac_f64_e32 v[30:31], v[12:13], v[86:87]
	scratch_load_dwordx4 v[10:13], off, off offset:304 ; 16-byte Folded Reload
	v_fmac_f64_e32 v[18:19], v[32:33], v[88:89]
	v_fmac_f64_e32 v[30:31], v[34:35], v[88:89]
	;; [unrolled: 6-line block ×3, first 2 shown]
	scratch_load_dwordx4 v[22:25], off, off offset:16 ; 16-byte Folded Reload
	v_fmac_f64_e32 v[26:27], v[94:95], v[88:89]
	v_fmac_f64_e32 v[56:57], v[96:97], v[88:89]
	scratch_load_dwordx4 v[86:89], off, off offset:64 ; 16-byte Folded Reload
	s_waitcnt vmcnt(2)
	v_fmac_f64_e32 v[122:123], v[10:11], v[50:51]
	v_fmac_f64_e32 v[66:67], v[12:13], v[50:51]
	scratch_load_dwordx4 v[10:13], off, off offset:48 ; 16-byte Folded Reload
	s_waitcnt vmcnt(2)
	;; [unrolled: 4-line block ×3, first 2 shown]
	v_fmac_f64_e32 v[122:123], v[86:87], v[52:53]
	v_fmac_f64_e32 v[66:67], v[88:89], v[52:53]
	;; [unrolled: 1-line block ×6, first 2 shown]
	scratch_load_dwordx4 v[102:105], off, off offset:352 ; 16-byte Folded Reload
	scratch_load_dwordx4 v[118:121], off, off offset:192 ; 16-byte Folded Reload
	s_waitcnt vmcnt(3)
	v_fmac_f64_e32 v[26:27], v[10:11], v[52:53]
	v_fmac_f64_e32 v[56:57], v[12:13], v[52:53]
	scratch_load_dwordx4 v[10:13], off, off offset:144 ; 16-byte Folded Reload
	s_waitcnt vmcnt(3)
	v_fmac_f64_e32 v[18:19], v[22:23], v[50:51]
	v_fmac_f64_e32 v[30:31], v[24:25], v[50:51]
	;; [unrolled: 4-line block ×4, first 2 shown]
	s_waitcnt vmcnt(0)
	v_fmac_f64_e32 v[20:21], v[10:11], v[52:53]
	v_fmac_f64_e32 v[0:1], v[12:13], v[52:53]
	scratch_load_dwordx4 v[10:13], off, off offset:448 ; 16-byte Folded Reload
	v_mov_b64_e32 v[54:55], v[40:41]
	v_mov_b64_e32 v[52:53], v[38:39]
	s_waitcnt vmcnt(0)
	v_fmac_f64_e32 v[26:27], v[10:11], v[72:73]
	v_fmac_f64_e32 v[56:57], v[12:13], v[72:73]
	scratch_load_dwordx4 v[10:13], off, off offset:336 ; 16-byte Folded Reload
	v_fmac_f64_e32 v[56:57], v[78:79], v[74:75]
	scratch_load_dwordx4 v[78:81], off, off offset:240 ; 16-byte Folded Reload
	v_fmac_f64_e32 v[26:27], v[76:77], v[74:75]
	s_waitcnt vmcnt(1)
	v_fmac_f64_e32 v[18:19], v[10:11], v[72:73]
	v_fmac_f64_e32 v[30:31], v[12:13], v[72:73]
	scratch_load_dwordx4 v[10:13], off, off offset:544 ; 16-byte Folded Reload
	v_fmac_f64_e32 v[18:19], v[42:43], v[74:75]
	scratch_store_dwordx2 off, v[18:19], off offset:1264 ; 8-byte Folded Spill
	v_fmac_f64_e32 v[30:31], v[44:45], v[74:75]
	scratch_store_dwordx2 off, v[30:31], off offset:1040 ; 8-byte Folded Spill
	v_mov_b64_e32 v[44:45], v[118:119]
	v_mov_b64_e32 v[46:47], v[120:121]
	s_waitcnt vmcnt(2)
	v_fmac_f64_e32 v[20:21], v[10:11], v[72:73]
	v_fmac_f64_e32 v[20:21], v[124:125], v[74:75]
	scratch_store_dwordx2 off, v[20:21], off offset:736 ; 8-byte Folded Spill
	v_fmac_f64_e32 v[0:1], v[12:13], v[72:73]
	scratch_load_dwordx4 v[10:13], off, off offset:656 ; 16-byte Folded Reload
	scratch_load_dwordx4 v[18:21], off, off offset:224 ; 16-byte Folded Reload
	v_fmac_f64_e32 v[0:1], v[126:127], v[74:75]
	scratch_load_dwordx4 v[74:77], off, off offset:384 ; 16-byte Folded Reload
	v_fma_f64 v[72:73], v[104:105], v[14:15], 0
	scratch_store_dwordx2 off, v[0:1], off offset:528 ; 8-byte Folded Spill
	v_fmac_f64_e32 v[72:73], v[92:93], v[16:17]
	s_waitcnt vmcnt(3)
	v_fma_f64 v[0:1], v[106:107], v[10:11], 0
	s_waitcnt vmcnt(2)
	v_fma_f64 v[30:31], v[18:19], v[10:11], 0
	v_fma_f64 v[84:85], v[108:109], v[10:11], 0
	v_fmac_f64_e32 v[30:31], v[118:119], v[12:13]
	v_fma_f64 v[82:83], v[20:21], v[10:11], 0
	v_fma_f64 v[42:43], v[102:103], v[10:11], 0
	v_fma_f64 v[118:119], v[104:105], v[10:11], 0
	v_fma_f64 v[24:25], v[52:53], v[10:11], 0
	s_waitcnt vmcnt(1)
	v_fmac_f64_e32 v[0:1], v[74:75], v[12:13]
	v_fmac_f64_e32 v[84:85], v[76:77], v[12:13]
	;; [unrolled: 1-line block ×6, first 2 shown]
	v_fma_f64 v[22:23], v[54:55], v[10:11], 0
	v_mov_b64_e32 v[40:41], v[12:13]
	v_mov_b64_e32 v[10:11], v[52:53]
	;; [unrolled: 1-line block ×3, first 2 shown]
	scratch_load_dwordx4 v[50:53], off, off offset:640 ; 16-byte Folded Reload
	scratch_load_dwordx4 v[18:21], off, off offset:112 ; 16-byte Folded Reload
	v_fmac_f64_e32 v[22:23], v[80:81], v[40:41]
	v_fma_f64 v[120:121], v[108:109], v[14:15], 0
	v_fmac_f64_e32 v[70:71], v[74:75], v[16:17]
	v_fmac_f64_e32 v[120:121], v[76:77], v[16:17]
	s_waitcnt vmcnt(1)
	v_fmac_f64_e32 v[30:31], v[98:99], v[50:51]
	s_waitcnt vmcnt(0)
	v_fmac_f64_e32 v[0:1], v[18:19], v[50:51]
	v_fmac_f64_e32 v[84:85], v[20:21], v[50:51]
	scratch_load_dwordx4 v[18:21], off, off offset:256 ; 16-byte Folded Reload
	v_fmac_f64_e32 v[82:83], v[100:101], v[50:51]
	v_fmac_f64_e32 v[30:31], v[94:95], v[52:53]
	;; [unrolled: 1-line block ×3, first 2 shown]
	scratch_load_dwordx4 v[94:97], off, off offset:304 ; 16-byte Folded Reload
	v_fmac_f64_e32 v[0:1], v[112:113], v[52:53]
	v_fmac_f64_e32 v[84:85], v[114:115], v[52:53]
	s_waitcnt vmcnt(1)
	v_fmac_f64_e32 v[42:43], v[18:19], v[50:51]
	v_fmac_f64_e32 v[118:119], v[20:21], v[50:51]
	scratch_load_dwordx4 v[18:21], off, off offset:176 ; 16-byte Folded Reload
	v_fmac_f64_e32 v[42:43], v[32:33], v[52:53]
	s_waitcnt vmcnt(1)
	v_fmac_f64_e32 v[24:25], v[94:95], v[50:51]
	v_fmac_f64_e32 v[22:23], v[96:97], v[50:51]
	;; [unrolled: 1-line block ×3, first 2 shown]
	s_waitcnt vmcnt(0)
	v_fmac_f64_e32 v[24:25], v[18:19], v[52:53]
	v_fmac_f64_e32 v[22:23], v[20:21], v[52:53]
	scratch_load_dwordx4 v[50:53], off, off offset:624 ; 16-byte Folded Reload
	scratch_load_dwordx4 v[18:21], off, off offset:32 ; 16-byte Folded Reload
	;; [unrolled: 1-line block ×3, first 2 shown]
	s_waitcnt vmcnt(1)
	v_fmac_f64_e32 v[0:1], v[18:19], v[50:51]
	v_fmac_f64_e32 v[84:85], v[20:21], v[50:51]
	scratch_load_dwordx4 v[18:21], off, off offset:16 ; 16-byte Folded Reload
	v_fmac_f64_e32 v[0:1], v[86:87], v[52:53]
	v_fmac_f64_e32 v[84:85], v[88:89], v[52:53]
	s_waitcnt vmcnt(0)
	v_fmac_f64_e32 v[30:31], v[18:19], v[50:51]
	v_fmac_f64_e32 v[82:83], v[20:21], v[50:51]
	scratch_load_dwordx4 v[18:21], off, off offset:80 ; 16-byte Folded Reload
	v_fmac_f64_e32 v[30:31], v[38:39], v[52:53]
	v_fmac_f64_e32 v[82:83], v[40:41], v[52:53]
	scratch_load_dwordx4 v[38:41], off, off offset:144 ; 16-byte Folded Reload
	s_waitcnt vmcnt(1)
	v_fmac_f64_e32 v[42:43], v[18:19], v[50:51]
	v_fmac_f64_e32 v[118:119], v[20:21], v[50:51]
	scratch_load_dwordx4 v[18:21], off, off offset:128 ; 16-byte Folded Reload
	s_waitcnt vmcnt(1)
	;; [unrolled: 4-line block ×3, first 2 shown]
	v_fmac_f64_e32 v[24:25], v[18:19], v[50:51]
	v_fmac_f64_e32 v[22:23], v[20:21], v[50:51]
	s_waitcnt vmcnt(0)
	v_fmac_f64_e32 v[24:25], v[38:39], v[52:53]
	v_fmac_f64_e32 v[22:23], v[40:41], v[52:53]
	scratch_load_dwordx4 v[50:53], off, off offset:608 ; 16-byte Folded Reload
	scratch_load_dwordx4 v[18:21], off, off offset:160 ; 16-byte Folded Reload
	;; [unrolled: 1-line block ×6, first 2 shown]
	s_waitcnt vmcnt(4)
	v_fmac_f64_e32 v[0:1], v[18:19], v[50:51]
	v_fmac_f64_e32 v[84:85], v[20:21], v[50:51]
	scratch_load_dwordx4 v[18:21], off, off offset:448 ; 16-byte Folded Reload
	s_waitcnt vmcnt(4)
	v_fmac_f64_e32 v[0:1], v[124:125], v[52:53]
	v_fmac_f64_e32 v[84:85], v[126:127], v[52:53]
	s_waitcnt vmcnt(0)
	v_fmac_f64_e32 v[30:31], v[18:19], v[50:51]
	v_fmac_f64_e32 v[82:83], v[20:21], v[50:51]
	v_fmac_f64_e32 v[30:31], v[38:39], v[52:53]
	v_fmac_f64_e32 v[82:83], v[40:41], v[52:53]
	scratch_load_dwordx4 v[18:21], off, off offset:336 ; 16-byte Folded Reload
	scratch_load_dwordx4 v[38:41], off, off offset:544 ; 16-byte Folded Reload
	s_waitcnt vmcnt(1)
	v_fmac_f64_e32 v[42:43], v[18:19], v[50:51]
	v_fmac_f64_e32 v[118:119], v[20:21], v[50:51]
	s_waitcnt vmcnt(0)
	v_fmac_f64_e32 v[24:25], v[38:39], v[50:51]
	v_fmac_f64_e32 v[22:23], v[40:41], v[50:51]
	;; [unrolled: 1-line block ×6, first 2 shown]
	v_mov_b64_e32 v[50:51], v[106:107]
	v_mov_b64_e32 v[52:53], v[108:109]
	scratch_load_dwordx4 v[106:109], off, off offset:224 ; 16-byte Folded Reload
	v_mov_b64_e32 v[18:19], v[32:33]
	v_mov_b64_e32 v[20:21], v[34:35]
	v_mov_b64_e32 v[34:35], v[12:13]
	v_mov_b64_e32 v[32:33], v[10:11]
	scratch_store_dwordx2 off, v[24:25], off offset:640 ; 8-byte Folded Spill
	scratch_store_dwordx2 off, v[22:23], off offset:592 ; 8-byte Folded Spill
	v_fma_f64 v[24:25], v[32:33], v[14:15], 0
	v_fma_f64 v[10:11], v[34:35], v[14:15], 0
	v_fmac_f64_e32 v[24:25], v[78:79], v[16:17]
	v_fmac_f64_e32 v[10:11], v[80:81], v[16:17]
	;; [unrolled: 1-line block ×4, first 2 shown]
	scratch_load_dwordx4 v[78:81], off, off offset:160 ; 16-byte Folded Reload
	s_waitcnt vmcnt(3)
	v_fma_f64 v[54:55], v[106:107], v[14:15], 0
	v_fmac_f64_e32 v[54:55], v[44:45], v[16:17]
	v_fma_f64 v[22:23], v[108:109], v[14:15], 0
	v_fma_f64 v[44:45], v[102:103], v[14:15], 0
	v_fmac_f64_e32 v[22:23], v[46:47], v[16:17]
	v_fmac_f64_e32 v[44:45], v[90:91], v[16:17]
	scratch_load_dwordx4 v[14:17], off, off offset:112 ; 16-byte Folded Reload
	s_waitcnt vmcnt(0)
	v_fmac_f64_e32 v[70:71], v[14:15], v[62:63]
	scratch_load_dwordx4 v[12:15], off, off offset:368 ; 16-byte Folded Reload
	v_fmac_f64_e32 v[120:121], v[16:17], v[62:63]
	s_waitcnt vmcnt(0)
	v_fmac_f64_e32 v[120:121], v[14:15], v[64:65]
	scratch_load_dwordx4 v[14:17], off, off offset:208 ; 16-byte Folded Reload
	v_fmac_f64_e32 v[70:71], v[12:13], v[64:65]
	s_waitcnt vmcnt(0)
	v_fmac_f64_e32 v[54:55], v[14:15], v[62:63]
	scratch_load_dwordx4 v[12:15], off, off ; 16-byte Folded Reload
	v_fmac_f64_e32 v[22:23], v[16:17], v[62:63]
	s_waitcnt vmcnt(0)
	v_fmac_f64_e32 v[54:55], v[12:13], v[64:65]
	v_fmac_f64_e32 v[22:23], v[14:15], v[64:65]
	scratch_load_dwordx4 v[12:15], off, off offset:256 ; 16-byte Folded Reload
	s_waitcnt vmcnt(0)
	v_fmac_f64_e32 v[44:45], v[12:13], v[62:63]
	v_fmac_f64_e32 v[72:73], v[14:15], v[62:63]
	scratch_load_dwordx4 v[12:15], off, off offset:176 ; 16-byte Folded Reload
	v_fmac_f64_e32 v[44:45], v[18:19], v[64:65]
	v_fmac_f64_e32 v[72:73], v[20:21], v[64:65]
	v_mov_b64_e32 v[18:19], v[124:125]
	v_mov_b64_e32 v[20:21], v[126:127]
	s_waitcnt vmcnt(0)
	v_fmac_f64_e32 v[10:11], v[14:15], v[64:65]
	scratch_load_dwordx4 v[14:17], off, off offset:32 ; 16-byte Folded Reload
	v_fmac_f64_e32 v[24:25], v[12:13], v[64:65]
	s_waitcnt vmcnt(0)
	v_fmac_f64_e32 v[70:71], v[14:15], v[6:7]
	scratch_load_dwordx4 v[12:15], off, off offset:64 ; 16-byte Folded Reload
	v_fmac_f64_e32 v[120:121], v[16:17], v[6:7]
	;; [unrolled: 4-line block ×3, first 2 shown]
	v_fmac_f64_e32 v[70:71], v[78:79], v[2:3]
	v_fmac_f64_e32 v[120:121], v[80:81], v[2:3]
	;; [unrolled: 1-line block ×4, first 2 shown]
	v_mov_b64_e32 v[126:127], v[76:77]
	v_mov_b64_e32 v[124:125], v[74:75]
	s_waitcnt vmcnt(0)
	v_fmac_f64_e32 v[54:55], v[14:15], v[6:7]
	scratch_load_dwordx4 v[12:15], off, off offset:48 ; 16-byte Folded Reload
	v_fmac_f64_e32 v[22:23], v[16:17], v[6:7]
	s_waitcnt vmcnt(0)
	v_fmac_f64_e32 v[22:23], v[14:15], v[8:9]
	scratch_load_dwordx4 v[14:17], off, off offset:80 ; 16-byte Folded Reload
	v_fmac_f64_e32 v[54:55], v[12:13], v[8:9]
	s_waitcnt vmcnt(0)
	v_fmac_f64_e32 v[44:45], v[14:15], v[6:7]
	scratch_load_dwordx4 v[12:15], off, off offset:144 ; 16-byte Folded Reload
	v_fmac_f64_e32 v[72:73], v[16:17], v[6:7]
	s_waitcnt vmcnt(0)
	v_fmac_f64_e32 v[72:73], v[14:15], v[8:9]
	scratch_load_dwordx4 v[14:17], off, off offset:128 ; 16-byte Folded Reload
	v_fmac_f64_e32 v[44:45], v[12:13], v[8:9]
	s_waitcnt vmcnt(0)
	v_fmac_f64_e32 v[24:25], v[14:15], v[6:7]
	scratch_load_dwordx4 v[12:15], off, off offset:432 ; 16-byte Folded Reload
	v_fmac_f64_e32 v[10:11], v[16:17], v[6:7]
	s_waitcnt vmcnt(0)
	v_fmac_f64_e32 v[24:25], v[12:13], v[8:9]
	v_fmac_f64_e32 v[10:11], v[14:15], v[8:9]
	scratch_load_dwordx4 v[6:9], off, off offset:448 ; 16-byte Folded Reload
	v_mov_b64_e32 v[64:65], v[14:15]
	v_mov_b64_e32 v[62:63], v[12:13]
	scratch_load_dwordx4 v[12:15], off, off offset:96 ; 16-byte Folded Reload
	v_fmac_f64_e32 v[24:25], v[38:39], v[2:3]
	v_fmac_f64_e32 v[10:11], v[40:41], v[2:3]
	;; [unrolled: 1-line block ×4, first 2 shown]
	scratch_store_dwordx2 off, v[24:25], off offset:1256 ; 8-byte Folded Spill
	scratch_store_dwordx2 off, v[10:11], off offset:1248 ; 8-byte Folded Spill
	s_waitcnt vmcnt(3)
	v_fmac_f64_e32 v[54:55], v[6:7], v[2:3]
	v_fmac_f64_e32 v[22:23], v[8:9], v[2:3]
	scratch_load_dwordx4 v[6:9], off, off offset:336 ; 16-byte Folded Reload
	s_waitcnt vmcnt(0)
	v_fmac_f64_e32 v[44:45], v[6:7], v[2:3]
	v_fmac_f64_e32 v[72:73], v[8:9], v[2:3]
	scratch_load_dwordx2 v[2:3], off, off offset:992 ; 8-byte Folded Reload
	scratch_load_dwordx2 v[6:7], off, off offset:1168 ; 8-byte Folded Reload
	v_fmac_f64_e32 v[44:45], v[112:113], v[4:5]
	v_fmac_f64_e32 v[72:73], v[114:115], v[4:5]
	v_mov_b64_e32 v[114:115], v[40:41]
	v_mov_b64_e32 v[112:113], v[38:39]
	scratch_load_dwordx4 v[38:41], off, off offset:240 ; 16-byte Folded Reload
	v_fmac_f64_e32 v[54:55], v[12:13], v[4:5]
	v_fmac_f64_e32 v[22:23], v[14:15], v[4:5]
	s_waitcnt vmcnt(2)
	global_store_dwordx2 v[2:3], v[48:49], off
	s_waitcnt vmcnt(2)
	v_fma_f64 v[2:3], v[50:51], v[6:7], 0
	v_fma_f64 v[4:5], v[52:53], v[6:7], 0
	v_fmac_f64_e32 v[2:3], v[74:75], v[110:111]
	v_fmac_f64_e32 v[4:5], v[76:77], v[110:111]
	v_mov_b64_e32 v[74:75], v[106:107]
	v_mov_b64_e32 v[24:25], v[6:7]
	;; [unrolled: 1-line block ×3, first 2 shown]
	v_fma_f64 v[6:7], v[74:75], v[24:25], 0
	v_fma_f64 v[8:9], v[76:77], v[24:25], 0
	;; [unrolled: 1-line block ×6, first 2 shown]
	scratch_load_dwordx4 v[106:109], off, off offset:192 ; 16-byte Folded Reload
	s_waitcnt vmcnt(2)
	v_fmac_f64_e32 v[16:17], v[38:39], v[110:111]
	v_fmac_f64_e32 v[24:25], v[40:41], v[110:111]
	scratch_load_dwordx4 v[38:41], off, off offset:112 ; 16-byte Folded Reload
	v_fmac_f64_e32 v[10:11], v[90:91], v[110:111]
	v_fmac_f64_e32 v[12:13], v[92:93], v[110:111]
	;; [unrolled: 1-line block ×4, first 2 shown]
	v_mov_b64_e32 v[46:47], v[50:51]
	v_mov_b64_e32 v[48:49], v[52:53]
	;; [unrolled: 1-line block ×6, first 2 shown]
	scratch_load_dwordx4 v[50:53], off, off offset:464 ; 16-byte Folded Reload
	s_waitcnt vmcnt(2)
	v_fmac_f64_e32 v[6:7], v[106:107], v[110:111]
	v_fmac_f64_e32 v[8:9], v[108:109], v[110:111]
	v_mov_b64_e32 v[106:107], v[124:125]
	s_waitcnt vmcnt(1)
	v_fmac_f64_e32 v[2:3], v[38:39], v[36:37]
	v_fmac_f64_e32 v[4:5], v[40:41], v[36:37]
	scratch_load_dwordx4 v[38:41], off, off offset:208 ; 16-byte Folded Reload
	v_mov_b64_e32 v[108:109], v[126:127]
	s_waitcnt vmcnt(0)
	v_fmac_f64_e32 v[6:7], v[38:39], v[36:37]
	v_fmac_f64_e32 v[8:9], v[40:41], v[36:37]
	scratch_load_dwordx4 v[38:41], off, off offset:256 ; 16-byte Folded Reload
	s_waitcnt vmcnt(0)
	v_fmac_f64_e32 v[10:11], v[38:39], v[36:37]
	v_fmac_f64_e32 v[12:13], v[40:41], v[36:37]
	scratch_load_dwordx4 v[36:39], off, off offset:368 ; 16-byte Folded Reload
	v_fmac_f64_e32 v[10:11], v[50:51], v[68:69]
	v_fmac_f64_e32 v[12:13], v[52:53], v[68:69]
	s_waitcnt vmcnt(0)
	v_fmac_f64_e32 v[2:3], v[36:37], v[68:69]
	v_fmac_f64_e32 v[4:5], v[38:39], v[68:69]
	scratch_load_dwordx4 v[36:39], off, off ; 16-byte Folded Reload
	s_waitcnt vmcnt(0)
	v_fmac_f64_e32 v[6:7], v[36:37], v[68:69]
	v_fmac_f64_e32 v[8:9], v[38:39], v[68:69]
	scratch_load_dwordx4 v[36:39], off, off offset:176 ; 16-byte Folded Reload
	s_waitcnt vmcnt(0)
	v_fmac_f64_e32 v[16:17], v[36:37], v[68:69]
	v_fmac_f64_e32 v[24:25], v[38:39], v[68:69]
	scratch_load_dwordx4 v[36:39], off, off offset:32 ; 16-byte Folded Reload
	;; [unrolled: 4-line block ×7, first 2 shown]
	v_fmac_f64_e32 v[2:3], v[78:79], v[0:1]
	v_fmac_f64_e32 v[4:5], v[80:81], v[0:1]
	s_waitcnt vmcnt(0)
	v_fmac_f64_e32 v[6:7], v[36:37], v[122:123]
	v_fmac_f64_e32 v[8:9], v[38:39], v[122:123]
	scratch_load_dwordx4 v[36:39], off, off offset:144 ; 16-byte Folded Reload
	s_waitcnt vmcnt(0)
	v_fmac_f64_e32 v[10:11], v[36:37], v[122:123]
	v_fmac_f64_e32 v[12:13], v[38:39], v[122:123]
	v_mov_b64_e32 v[36:37], v[62:63]
	v_mov_b64_e32 v[38:39], v[64:65]
	v_fmac_f64_e32 v[16:17], v[36:37], v[122:123]
	v_fmac_f64_e32 v[24:25], v[38:39], v[122:123]
	scratch_load_dwordx4 v[36:39], off, off offset:448 ; 16-byte Folded Reload
	scratch_load_dwordx4 v[62:65], off, off offset:96 ; 16-byte Folded Reload
	s_waitcnt vmcnt(1)
	v_fmac_f64_e32 v[6:7], v[36:37], v[0:1]
	v_fmac_f64_e32 v[8:9], v[38:39], v[0:1]
	scratch_load_dwordx4 v[36:39], off, off offset:336 ; 16-byte Folded Reload
	s_waitcnt vmcnt(1)
	v_fmac_f64_e32 v[6:7], v[62:63], v[70:71]
	v_fmac_f64_e32 v[8:9], v[64:65], v[70:71]
	scratch_store_dwordx2 off, v[6:7], off offset:832 ; 8-byte Folded Spill
	scratch_store_dwordx2 off, v[8:9], off offset:720 ; 8-byte Folded Spill
	scratch_load_dwordx4 v[6:9], off, off offset:288 ; 16-byte Folded Reload
	s_waitcnt vmcnt(3)
	v_fmac_f64_e32 v[10:11], v[36:37], v[0:1]
	v_fmac_f64_e32 v[12:13], v[38:39], v[0:1]
	v_mov_b64_e32 v[36:37], v[112:113]
	v_mov_b64_e32 v[38:39], v[114:115]
	v_fmac_f64_e32 v[24:25], v[38:39], v[0:1]
	s_waitcnt vmcnt(0)
	v_fmac_f64_e32 v[10:11], v[6:7], v[70:71]
	v_fmac_f64_e32 v[12:13], v[8:9], v[70:71]
	scratch_load_dwordx4 v[6:9], off, off offset:272 ; 16-byte Folded Reload
	v_mov_b64_e32 v[114:115], v[20:21]
	scratch_store_dwordx2 off, v[10:11], off offset:656 ; 8-byte Folded Spill
	scratch_load_dwordx2 v[10:11], off, off offset:1136 ; 8-byte Folded Reload
	v_mov_b64_e32 v[112:113], v[18:19]
	v_fmac_f64_e32 v[2:3], v[112:113], v[70:71]
	v_fmac_f64_e32 v[4:5], v[114:115], v[70:71]
	v_mov_b64_e32 v[114:115], v[48:49]
	v_fmac_f64_e32 v[16:17], v[36:37], v[0:1]
	v_mov_b64_e32 v[112:113], v[46:47]
	scratch_store_dwordx2 off, v[12:13], off offset:624 ; 8-byte Folded Spill
	scratch_store_dwordx2 off, v[2:3], off offset:880 ; 8-byte Folded Spill
	;; [unrolled: 1-line block ×3, first 2 shown]
	v_mov_b64_e32 v[2:3], v[18:19]
	v_mov_b64_e32 v[4:5], v[20:21]
	s_waitcnt vmcnt(5)
	v_fmac_f64_e32 v[24:25], v[8:9], v[70:71]
	scratch_load_dwordx2 v[8:9], off, off offset:1128 ; 8-byte Folded Reload
	v_fmac_f64_e32 v[16:17], v[6:7], v[70:71]
	s_waitcnt vmcnt(4)
	v_mov_b64_e32 v[46:47], v[10:11]
	v_mov_b64_e32 v[68:69], v[74:75]
	scratch_store_dwordx2 off, v[16:17], off offset:608 ; 8-byte Folded Spill
	scratch_store_dwordx2 off, v[24:25], off offset:496 ; 8-byte Folded Spill
	v_mov_b64_e32 v[70:71], v[76:77]
	scratch_load_dwordx4 v[74:77], off, off offset:240 ; 16-byte Folded Reload
	s_waitcnt vmcnt(3)
	v_fma_f64 v[0:1], v[112:113], v[8:9], 0
	v_fma_f64 v[6:7], v[114:115], v[8:9], 0
	v_fmac_f64_e32 v[0:1], v[124:125], v[10:11]
	v_fmac_f64_e32 v[6:7], v[126:127], v[10:11]
	scratch_load_dwordx4 v[10:13], off, off offset:192 ; 16-byte Folded Reload
	v_mov_b64_e32 v[36:37], v[8:9]
	v_fma_f64 v[8:9], v[98:99], v[36:37], 0
	v_fma_f64 v[16:17], v[104:105], v[36:37], 0
	;; [unrolled: 1-line block ×4, first 2 shown]
	v_mov_b64_e32 v[126:127], v[92:93]
	v_mov_b64_e32 v[124:125], v[90:91]
	v_fmac_f64_e32 v[16:17], v[126:127], v[46:47]
	s_waitcnt vmcnt(1)
	v_fmac_f64_e32 v[24:25], v[74:75], v[46:47]
	v_fmac_f64_e32 v[38:39], v[76:77], v[46:47]
	s_waitcnt vmcnt(0)
	v_fmac_f64_e32 v[8:9], v[10:11], v[46:47]
	v_fma_f64 v[10:11], v[100:101], v[36:37], 0
	v_fmac_f64_e32 v[10:11], v[12:13], v[46:47]
	v_fma_f64 v[12:13], v[102:103], v[36:37], 0
	scratch_load_dwordx4 v[18:21], off, off offset:112 ; 16-byte Folded Reload
	scratch_load_dwordx2 v[36:37], off, off offset:1152 ; 8-byte Folded Reload
	v_fmac_f64_e32 v[12:13], v[124:125], v[46:47]
	v_mov_b64_e32 v[46:47], v[74:75]
	scratch_load_dwordx4 v[98:101], off, off offset:304 ; 16-byte Folded Reload
	v_mov_b64_e32 v[48:49], v[76:77]
	scratch_load_dwordx4 v[74:77], off, off offset:48 ; 16-byte Folded Reload
	scratch_load_dwordx4 v[90:93], off, off offset:80 ; 16-byte Folded Reload
	;; [unrolled: 1-line block ×3, first 2 shown]
	s_waitcnt vmcnt(4)
	v_fmac_f64_e32 v[0:1], v[18:19], v[36:37]
	v_fmac_f64_e32 v[6:7], v[20:21], v[36:37]
	scratch_load_dwordx4 v[18:21], off, off offset:208 ; 16-byte Folded Reload
	s_waitcnt vmcnt(0)
	v_fmac_f64_e32 v[8:9], v[18:19], v[36:37]
	v_fmac_f64_e32 v[10:11], v[20:21], v[36:37]
	scratch_load_dwordx4 v[18:21], off, off offset:256 ; 16-byte Folded Reload
	;; [unrolled: 4-line block ×3, first 2 shown]
	v_fmac_f64_e32 v[12:13], v[50:51], v[28:29]
	v_fmac_f64_e32 v[16:17], v[52:53], v[28:29]
	;; [unrolled: 1-line block ×4, first 2 shown]
	s_waitcnt vmcnt(0)
	v_fmac_f64_e32 v[0:1], v[18:19], v[28:29]
	v_fmac_f64_e32 v[6:7], v[20:21], v[28:29]
	scratch_load_dwordx4 v[18:21], off, off ; 16-byte Folded Reload
	s_waitcnt vmcnt(0)
	v_fmac_f64_e32 v[8:9], v[18:19], v[28:29]
	v_fmac_f64_e32 v[10:11], v[20:21], v[28:29]
	scratch_load_dwordx4 v[18:21], off, off offset:176 ; 16-byte Folded Reload
	v_fmac_f64_e32 v[24:25], v[98:99], v[36:37]
	v_fmac_f64_e32 v[38:39], v[100:101], v[36:37]
	s_waitcnt vmcnt(0)
	v_fmac_f64_e32 v[24:25], v[18:19], v[28:29]
	v_fmac_f64_e32 v[38:39], v[20:21], v[28:29]
	scratch_load_dwordx4 v[18:21], off, off offset:32 ; 16-byte Folded Reload
	s_waitcnt vmcnt(0)
	v_fmac_f64_e32 v[0:1], v[18:19], v[60:61]
	v_fmac_f64_e32 v[6:7], v[20:21], v[60:61]
	scratch_load_dwordx4 v[18:21], off, off offset:16 ; 16-byte Folded Reload
	v_fmac_f64_e32 v[0:1], v[102:103], v[66:67]
	v_fmac_f64_e32 v[6:7], v[104:105], v[66:67]
	;; [unrolled: 1-line block ×4, first 2 shown]
	scratch_load_dwordx4 v[78:81], off, off offset:448 ; 16-byte Folded Reload
	v_fmac_f64_e32 v[6:7], v[4:5], v[120:121]
	v_fmac_f64_e32 v[0:1], v[2:3], v[120:121]
	scratch_store_dwordx2 off, v[6:7], off offset:1152 ; 8-byte Folded Spill
	v_mov_b64_e32 v[6:7], v[4:5]
	scratch_store_dwordx2 off, v[0:1], off offset:1168 ; 8-byte Folded Spill
	v_mov_b64_e32 v[4:5], v[2:3]
	scratch_load_dwordx4 v[0:3], off, off offset:288 ; 16-byte Folded Reload
	s_waitcnt vmcnt(4)
	v_fmac_f64_e32 v[8:9], v[18:19], v[60:61]
	v_fmac_f64_e32 v[10:11], v[20:21], v[60:61]
	scratch_load_dwordx4 v[18:21], off, off offset:128 ; 16-byte Folded Reload
	v_fmac_f64_e32 v[8:9], v[74:75], v[66:67]
	v_fmac_f64_e32 v[10:11], v[76:77], v[66:67]
	scratch_load_dwordx4 v[74:77], off, off offset:144 ; 16-byte Folded Reload
	s_waitcnt vmcnt(1)
	v_fmac_f64_e32 v[24:25], v[18:19], v[60:61]
	v_fmac_f64_e32 v[38:39], v[20:21], v[60:61]
	v_mov_b64_e32 v[18:19], v[102:103]
	v_mov_b64_e32 v[20:21], v[104:105]
	scratch_load_dwordx4 v[102:105], off, off offset:544 ; 16-byte Folded Reload
	v_fmac_f64_e32 v[8:9], v[78:79], v[84:85]
	v_fmac_f64_e32 v[10:11], v[80:81], v[84:85]
	scratch_load_dwordx4 v[78:81], off, off offset:336 ; 16-byte Folded Reload
	s_waitcnt vmcnt(2)
	v_fmac_f64_e32 v[12:13], v[74:75], v[66:67]
	v_fmac_f64_e32 v[16:17], v[76:77], v[66:67]
	scratch_load_dwordx4 v[74:77], off, off offset:432 ; 16-byte Folded Reload
	v_fmac_f64_e32 v[8:9], v[62:63], v[120:121]
	scratch_store_dwordx2 off, v[8:9], off offset:1136 ; 8-byte Folded Spill
	v_fmac_f64_e32 v[10:11], v[64:65], v[120:121]
	scratch_load_dwordx2 v[8:9], off, off offset:1192 ; 8-byte Folded Reload
	s_waitcnt vmcnt(3)
	v_fmac_f64_e32 v[12:13], v[78:79], v[84:85]
	v_fmac_f64_e32 v[16:17], v[80:81], v[84:85]
	;; [unrolled: 1-line block ×4, first 2 shown]
	scratch_load_dwordx4 v[0:3], off, off offset:272 ; 16-byte Folded Reload
	s_waitcnt vmcnt(3)
	v_fmac_f64_e32 v[24:25], v[74:75], v[66:67]
	v_fmac_f64_e32 v[38:39], v[76:77], v[66:67]
	;; [unrolled: 1-line block ×4, first 2 shown]
	scratch_store_dwordx2 off, v[10:11], off offset:1128 ; 8-byte Folded Spill
	scratch_load_dwordx2 v[10:11], off, off offset:1200 ; 8-byte Folded Reload
	v_mov_b64_e32 v[80:81], v[64:65]
	scratch_store_dwordx2 off, v[12:13], off offset:960 ; 8-byte Folded Spill
	scratch_store_dwordx2 off, v[16:17], off offset:944 ; 8-byte Folded Spill
	v_mov_b64_e32 v[78:79], v[62:63]
	s_waitcnt vmcnt(4)
	v_fmac_f64_e32 v[24:25], v[0:1], v[120:121]
	v_fmac_f64_e32 v[38:39], v[2:3], v[120:121]
	scratch_load_dwordx4 v[0:3], off, off offset:192 ; 16-byte Folded Reload
	v_fma_f64 v[68:69], v[68:69], v[8:9], 0
	scratch_store_dwordx2 off, v[38:39], off offset:1240 ; 8-byte Folded Spill
	v_mov_b64_e32 v[38:39], v[34:35]
	scratch_store_dwordx2 off, v[24:25], off offset:928 ; 8-byte Folded Spill
	v_fma_f64 v[66:67], v[70:71], v[8:9], 0
	v_mov_b64_e32 v[36:37], v[32:33]
	v_fma_f64 v[12:13], v[112:113], v[8:9], 0
	v_fma_f64 v[122:123], v[114:115], v[8:9], 0
	v_fma_f64 v[64:65], v[94:95], v[8:9], 0
	v_fma_f64 v[62:63], v[96:97], v[8:9], 0
	v_fma_f64 v[60:61], v[36:37], v[8:9], 0
	v_fma_f64 v[116:117], v[38:39], v[8:9], 0
	s_waitcnt vmcnt(5)
	v_fmac_f64_e32 v[12:13], v[106:107], v[10:11]
	v_fmac_f64_e32 v[122:123], v[108:109], v[10:11]
	;; [unrolled: 1-line block ×6, first 2 shown]
	s_waitcnt vmcnt(2)
	v_fmac_f64_e32 v[68:69], v[0:1], v[10:11]
	v_fmac_f64_e32 v[66:67], v[2:3], v[10:11]
	scratch_load_dwordx4 v[0:3], off, off offset:112 ; 16-byte Folded Reload
	scratch_load_dwordx2 v[8:9], off, off offset:1216 ; 8-byte Folded Reload
	s_waitcnt vmcnt(0)
	v_fmac_f64_e32 v[12:13], v[0:1], v[8:9]
	v_fmac_f64_e32 v[122:123], v[2:3], v[8:9]
	scratch_load_dwordx4 v[0:3], off, off offset:208 ; 16-byte Folded Reload
	v_fmac_f64_e32 v[60:61], v[98:99], v[8:9]
	v_fmac_f64_e32 v[116:117], v[100:101], v[8:9]
	s_waitcnt vmcnt(0)
	v_fmac_f64_e32 v[68:69], v[0:1], v[8:9]
	v_fmac_f64_e32 v[66:67], v[2:3], v[8:9]
	scratch_load_dwordx4 v[0:3], off, off offset:256 ; 16-byte Folded Reload
	scratch_load_dwordx4 v[86:89], off, off offset:368 ; 16-byte Folded Reload
	scratch_load_dwordx2 v[24:25], off, off offset:1224 ; 8-byte Folded Reload
	scratch_load_dwordx4 v[46:49], off, off offset:448 ; 16-byte Folded Reload
	scratch_load_dwordx4 v[32:35], off, off offset:144 ; 16-byte Folded Reload
	s_waitcnt vmcnt(4)
	v_fmac_f64_e32 v[64:65], v[0:1], v[8:9]
	v_fmac_f64_e32 v[62:63], v[2:3], v[8:9]
	scratch_load_dwordx4 v[0:3], off, off   ; 16-byte Folded Reload
	s_waitcnt vmcnt(3)
	v_fmac_f64_e32 v[64:65], v[50:51], v[24:25]
	v_fmac_f64_e32 v[62:63], v[52:53], v[24:25]
	scratch_load_dwordx4 v[50:53], off, off offset:128 ; 16-byte Folded Reload
	v_mov_b64_e32 v[8:9], v[98:99]
	v_mov_b64_e32 v[10:11], v[100:101]
	v_fmac_f64_e32 v[12:13], v[86:87], v[24:25]
	v_fmac_f64_e32 v[122:123], v[88:89], v[24:25]
	v_mov_b64_e32 v[96:97], v[88:89]
	v_mov_b64_e32 v[94:95], v[86:87]
	scratch_load_dwordx4 v[86:89], off, off offset:272 ; 16-byte Folded Reload
	v_fmac_f64_e32 v[64:65], v[90:91], v[58:59]
	v_fmac_f64_e32 v[62:63], v[92:93], v[58:59]
	scratch_load_dwordx4 v[90:93], off, off offset:288 ; 16-byte Folded Reload
	s_waitcnt vmcnt(4)
	v_fmac_f64_e32 v[62:63], v[34:35], v[26:27]
	v_fmac_f64_e32 v[64:65], v[32:33], v[26:27]
	s_waitcnt vmcnt(3)
	v_fmac_f64_e32 v[68:69], v[0:1], v[24:25]
	v_fmac_f64_e32 v[66:67], v[2:3], v[24:25]
	scratch_load_dwordx4 v[0:3], off, off offset:176 ; 16-byte Folded Reload
	s_waitcnt vmcnt(0)
	v_mov_b64_e32 v[100:101], v[2:3]
	v_fmac_f64_e32 v[60:61], v[0:1], v[24:25]
	v_fmac_f64_e32 v[116:117], v[2:3], v[24:25]
	v_mov_b64_e32 v[98:99], v[0:1]
	scratch_load_dwordx4 v[0:3], off, off offset:32 ; 16-byte Folded Reload
	v_fmac_f64_e32 v[60:61], v[50:51], v[58:59]
	v_fmac_f64_e32 v[116:117], v[52:53], v[58:59]
	;; [unrolled: 1-line block ×6, first 2 shown]
	v_mov_b64_e32 v[74:75], v[86:87]
	v_fmac_f64_e32 v[60:61], v[86:87], v[54:55]
	v_fmac_f64_e32 v[116:117], v[88:89], v[54:55]
	v_mov_b64_e32 v[76:77], v[88:89]
	scratch_load_dwordx4 v[86:89], off, off offset:352 ; 16-byte Folded Reload
	s_waitcnt vmcnt(1)
	v_fmac_f64_e32 v[12:13], v[0:1], v[58:59]
	v_fmac_f64_e32 v[122:123], v[2:3], v[58:59]
	scratch_load_dwordx4 v[0:3], off, off offset:16 ; 16-byte Folded Reload
	v_fmac_f64_e32 v[12:13], v[18:19], v[26:27]
	v_fmac_f64_e32 v[122:123], v[20:21], v[26:27]
	v_mov_b64_e32 v[18:19], v[46:47]
	v_mov_b64_e32 v[20:21], v[48:49]
	s_waitcnt vmcnt(0)
	v_fmac_f64_e32 v[68:69], v[0:1], v[58:59]
	v_fmac_f64_e32 v[66:67], v[2:3], v[58:59]
	scratch_load_dwordx4 v[0:3], off, off offset:48 ; 16-byte Folded Reload
	s_waitcnt vmcnt(0)
	v_fmac_f64_e32 v[68:69], v[0:1], v[26:27]
	v_fmac_f64_e32 v[66:67], v[2:3], v[26:27]
	scratch_load_dwordx4 v[0:3], off, off offset:160 ; 16-byte Folded Reload
	v_fmac_f64_e32 v[68:69], v[46:47], v[30:31]
	v_fmac_f64_e32 v[66:67], v[48:49], v[30:31]
	;; [unrolled: 1-line block ×4, first 2 shown]
	scratch_load_dwordx2 v[26:27], off, off offset:1184 ; 8-byte Folded Reload
	s_waitcnt vmcnt(1)
	v_fmac_f64_e32 v[12:13], v[0:1], v[30:31]
	v_fmac_f64_e32 v[122:123], v[2:3], v[30:31]
	scratch_load_dwordx4 v[0:3], off, off offset:336 ; 16-byte Folded Reload
	v_fmac_f64_e32 v[12:13], v[4:5], v[54:55]
	v_fmac_f64_e32 v[122:123], v[6:7], v[54:55]
	scratch_store_dwordx2 off, v[12:13], off offset:1192 ; 8-byte Folded Spill
	s_waitcnt vmcnt(1)
	v_fmac_f64_e32 v[62:63], v[2:3], v[30:31]
	scratch_load_dwordx2 v[2:3], off, off offset:1160 ; 8-byte Folded Reload
	v_fmac_f64_e32 v[64:65], v[0:1], v[30:31]
	v_mov_b64_e32 v[30:31], v[6:7]
	v_mov_b64_e32 v[28:29], v[4:5]
	v_fmac_f64_e32 v[64:65], v[90:91], v[54:55]
	v_fmac_f64_e32 v[62:63], v[92:93], v[54:55]
	s_waitcnt vmcnt(0)
	v_fma_f64 v[14:15], v[112:113], v[2:3], 0
	v_fma_f64 v[58:59], v[114:115], v[2:3], 0
	v_mov_b64_e32 v[24:25], v[2:3]
	scratch_load_dwordx4 v[2:5], off, off offset:224 ; 16-byte Folded Reload
	v_fma_f64 v[48:49], v[86:87], v[24:25], 0
	v_fma_f64 v[70:71], v[88:89], v[24:25], 0
	s_waitcnt vmcnt(0)
	v_fma_f64 v[54:55], v[2:3], v[24:25], 0
	scratch_load_dwordx4 v[0:3], off, off offset:192 ; 16-byte Folded Reload
	v_fma_f64 v[120:121], v[4:5], v[24:25], 0
	v_fmac_f64_e32 v[14:15], v[106:107], v[26:27]
	v_fmac_f64_e32 v[58:59], v[108:109], v[26:27]
	;; [unrolled: 1-line block ×4, first 2 shown]
	s_waitcnt vmcnt(0)
	v_fmac_f64_e32 v[54:55], v[0:1], v[26:27]
	v_fmac_f64_e32 v[120:121], v[2:3], v[26:27]
	v_mov_b64_e32 v[0:1], v[36:37]
	v_mov_b64_e32 v[2:3], v[38:39]
	v_fma_f64 v[16:17], v[0:1], v[24:25], 0
	scratch_load_dwordx4 v[36:39], off, off offset:240 ; 16-byte Folded Reload
	v_fma_f64 v[80:81], v[2:3], v[24:25], 0
	scratch_load_dwordx2 v[24:25], off, off offset:1176 ; 8-byte Folded Reload
	scratch_load_dwordx4 v[4:7], off, off offset:112 ; 16-byte Folded Reload
	v_mov_b64_e32 v[126:127], v[2:3]
	v_mov_b64_e32 v[124:125], v[0:1]
	s_waitcnt vmcnt(2)
	v_fmac_f64_e32 v[16:17], v[36:37], v[26:27]
	s_waitcnt vmcnt(1)
	v_fmac_f64_e32 v[16:17], v[8:9], v[24:25]
	;; [unrolled: 2-line block ×3, first 2 shown]
	v_fmac_f64_e32 v[58:59], v[6:7], v[24:25]
	scratch_load_dwordx4 v[4:7], off, off offset:208 ; 16-byte Folded Reload
	scratch_load_dwordx2 v[8:9], off, off offset:1208 ; 8-byte Folded Reload
	v_fmac_f64_e32 v[80:81], v[38:39], v[26:27]
	v_fmac_f64_e32 v[80:81], v[10:11], v[24:25]
	v_mov_b64_e32 v[0:1], v[36:37]
	v_mov_b64_e32 v[2:3], v[38:39]
	;; [unrolled: 1-line block ×4, first 2 shown]
	s_waitcnt vmcnt(1)
	v_fmac_f64_e32 v[54:55], v[4:5], v[24:25]
	v_fmac_f64_e32 v[120:121], v[6:7], v[24:25]
	scratch_load_dwordx4 v[4:7], off, off offset:256 ; 16-byte Folded Reload
	s_waitcnt vmcnt(0)
	v_fmac_f64_e32 v[48:49], v[4:5], v[24:25]
	v_fmac_f64_e32 v[70:71], v[6:7], v[24:25]
	scratch_load_dwordx4 v[4:7], off, off   ; 16-byte Folded Reload
	v_fmac_f64_e32 v[14:15], v[94:95], v[8:9]
	v_fmac_f64_e32 v[58:59], v[96:97], v[8:9]
	;; [unrolled: 1-line block ×4, first 2 shown]
	v_mov_b64_e32 v[96:97], v[52:53]
	v_mov_b64_e32 v[94:95], v[50:51]
	s_waitcnt vmcnt(0)
	v_fmac_f64_e32 v[54:55], v[4:5], v[8:9]
	v_fmac_f64_e32 v[120:121], v[6:7], v[8:9]
	scratch_load_dwordx4 v[4:7], off, off offset:464 ; 16-byte Folded Reload
	s_waitcnt vmcnt(0)
	v_fmac_f64_e32 v[48:49], v[4:5], v[8:9]
	v_fmac_f64_e32 v[70:71], v[6:7], v[8:9]
	scratch_load_dwordx4 v[4:7], off, off offset:32 ; 16-byte Folded Reload
	scratch_load_dwordx2 v[24:25], off, off offset:1232 ; 8-byte Folded Reload
	scratch_load_dwordx4 v[8:11], off, off offset:320 ; 16-byte Folded Reload
	s_waitcnt vmcnt(1)
	v_fmac_f64_e32 v[14:15], v[4:5], v[24:25]
	v_fmac_f64_e32 v[58:59], v[6:7], v[24:25]
	scratch_load_dwordx4 v[4:7], off, off offset:16 ; 16-byte Folded Reload
	v_fmac_f64_e32 v[16:17], v[50:51], v[24:25]
	v_fmac_f64_e32 v[80:81], v[52:53], v[24:25]
	s_waitcnt vmcnt(0)
	v_fmac_f64_e32 v[54:55], v[4:5], v[24:25]
	v_fmac_f64_e32 v[120:121], v[6:7], v[24:25]
	scratch_load_dwordx4 v[4:7], off, off offset:80 ; 16-byte Folded Reload
	s_waitcnt vmcnt(0)
	v_fmac_f64_e32 v[48:49], v[4:5], v[24:25]
	v_fmac_f64_e32 v[70:71], v[6:7], v[24:25]
	scratch_load_dwordx4 v[4:7], off, off offset:64 ; 16-byte Folded Reload
	v_fmac_f64_e32 v[48:49], v[32:33], v[56:57]
	v_fmac_f64_e32 v[70:71], v[34:35], v[56:57]
	s_waitcnt vmcnt(0)
	v_fmac_f64_e32 v[14:15], v[4:5], v[56:57]
	v_fmac_f64_e32 v[58:59], v[6:7], v[56:57]
	scratch_load_dwordx4 v[4:7], off, off offset:48 ; 16-byte Folded Reload
	s_waitcnt vmcnt(0)
	v_fmac_f64_e32 v[54:55], v[4:5], v[56:57]
	v_fmac_f64_e32 v[120:121], v[6:7], v[56:57]
	scratch_load_dwordx4 v[4:7], off, off offset:432 ; 16-byte Folded Reload
	v_fmac_f64_e32 v[120:121], v[20:21], v[82:83]
	scratch_load_dwordx2 v[20:21], off, off offset:1112 ; 8-byte Folded Reload
	v_fmac_f64_e32 v[54:55], v[18:19], v[82:83]
	scratch_load_dwordx2 v[18:19], off, off offset:1024 ; 8-byte Folded Reload
	s_waitcnt vmcnt(2)
	v_mov_b64_e32 v[52:53], v[6:7]
	v_fmac_f64_e32 v[16:17], v[4:5], v[56:57]
	v_fmac_f64_e32 v[80:81], v[6:7], v[56:57]
	v_mov_b64_e32 v[50:51], v[4:5]
	scratch_load_dwordx4 v[4:7], off, off offset:160 ; 16-byte Folded Reload
	v_fmac_f64_e32 v[16:17], v[38:39], v[82:83]
	v_fmac_f64_e32 v[80:81], v[40:41], v[82:83]
	;; [unrolled: 1-line block ×4, first 2 shown]
	s_waitcnt vmcnt(1)
	v_fma_f64 v[32:33], v[112:113], v[18:19], 0
	v_fmac_f64_e32 v[32:33], v[106:107], v[20:21]
	v_mov_b64_e32 v[104:105], v[124:125]
	v_mov_b64_e32 v[106:107], v[126:127]
	v_fma_f64 v[34:35], v[104:105], v[18:19], 0
	v_fma_f64 v[36:37], v[106:107], v[18:19], 0
	v_fmac_f64_e32 v[34:35], v[0:1], v[20:21]
	v_fmac_f64_e32 v[36:37], v[2:3], v[20:21]
	s_waitcnt vmcnt(0)
	v_fmac_f64_e32 v[14:15], v[4:5], v[82:83]
	v_fmac_f64_e32 v[58:59], v[6:7], v[82:83]
	scratch_load_dwordx4 v[4:7], off, off offset:336 ; 16-byte Folded Reload
	v_fmac_f64_e32 v[14:15], v[28:29], v[22:23]
	v_fmac_f64_e32 v[58:59], v[30:31], v[22:23]
	v_fma_f64 v[28:29], v[86:87], v[18:19], 0
	v_fma_f64 v[30:31], v[88:89], v[18:19], 0
	v_fmac_f64_e32 v[28:29], v[8:9], v[20:21]
	v_fmac_f64_e32 v[30:31], v[10:11], v[20:21]
	s_waitcnt vmcnt(0)
	v_fmac_f64_e32 v[48:49], v[4:5], v[82:83]
	v_fmac_f64_e32 v[70:71], v[6:7], v[82:83]
	scratch_load_dwordx4 v[4:7], off, off offset:96 ; 16-byte Folded Reload
	v_fmac_f64_e32 v[48:49], v[90:91], v[22:23]
	v_fmac_f64_e32 v[70:71], v[92:93], v[22:23]
	s_waitcnt vmcnt(0)
	v_fmac_f64_e32 v[54:55], v[4:5], v[22:23]
	v_fmac_f64_e32 v[120:121], v[6:7], v[22:23]
	v_fma_f64 v[22:23], v[114:115], v[18:19], 0
	scratch_load_dwordx4 v[112:115], off, off offset:224 ; 16-byte Folded Reload
	scratch_load_dwordx4 v[4:7], off, off offset:192 ; 16-byte Folded Reload
	v_fmac_f64_e32 v[22:23], v[108:109], v[20:21]
	v_mov_b64_e32 v[110:111], v[88:89]
	v_mov_b64_e32 v[108:109], v[86:87]
	v_mov_b64_e32 v[88:89], v[10:11]
	v_mov_b64_e32 v[86:87], v[8:9]
	s_waitcnt vmcnt(1)
	v_fma_f64 v[24:25], v[112:113], v[18:19], 0
	v_fma_f64 v[26:27], v[114:115], v[18:19], 0
	scratch_load_dwordx2 v[18:19], off, off offset:1032 ; 8-byte Folded Reload
	scratch_load_dwordx4 v[0:3], off, off offset:112 ; 16-byte Folded Reload
	s_waitcnt vmcnt(2)
	v_fmac_f64_e32 v[24:25], v[4:5], v[20:21]
	v_fmac_f64_e32 v[26:27], v[6:7], v[20:21]
	s_waitcnt vmcnt(0)
	v_fmac_f64_e32 v[32:33], v[0:1], v[18:19]
	v_fmac_f64_e32 v[22:23], v[2:3], v[18:19]
	scratch_load_dwordx4 v[0:3], off, off offset:208 ; 16-byte Folded Reload
	s_waitcnt vmcnt(0)
	v_fmac_f64_e32 v[24:25], v[0:1], v[18:19]
	v_fmac_f64_e32 v[26:27], v[2:3], v[18:19]
	scratch_load_dwordx4 v[0:3], off, off offset:256 ; 16-byte Folded Reload
	;; [unrolled: 4-line block ×3, first 2 shown]
	s_waitcnt vmcnt(0)
	v_fmac_f64_e32 v[34:35], v[0:1], v[18:19]
	v_fmac_f64_e32 v[36:37], v[2:3], v[18:19]
	scratch_load_dwordx2 v[18:19], off, off offset:1120 ; 8-byte Folded Reload
	scratch_load_dwordx4 v[0:3], off, off offset:368 ; 16-byte Folded Reload
	s_waitcnt vmcnt(1)
	v_fmac_f64_e32 v[34:35], v[98:99], v[18:19]
	s_waitcnt vmcnt(0)
	v_mov_b64_e32 v[84:85], v[2:3]
	v_fmac_f64_e32 v[32:33], v[0:1], v[18:19]
	v_fmac_f64_e32 v[22:23], v[2:3], v[18:19]
	v_mov_b64_e32 v[82:83], v[0:1]
	scratch_load_dwordx4 v[0:3], off, off   ; 16-byte Folded Reload
	v_fmac_f64_e32 v[36:37], v[100:101], v[18:19]
	s_waitcnt vmcnt(0)
	v_fmac_f64_e32 v[24:25], v[0:1], v[18:19]
	v_fmac_f64_e32 v[26:27], v[2:3], v[18:19]
	scratch_load_dwordx4 v[0:3], off, off offset:464 ; 16-byte Folded Reload
	s_waitcnt vmcnt(0)
	v_fmac_f64_e32 v[28:29], v[0:1], v[18:19]
	v_fmac_f64_e32 v[30:31], v[2:3], v[18:19]
	scratch_load_dwordx2 v[18:19], off, off offset:1144 ; 8-byte Folded Reload
	scratch_load_dwordx4 v[0:3], off, off offset:32 ; 16-byte Folded Reload
	s_waitcnt vmcnt(1)
	v_fmac_f64_e32 v[36:37], v[96:97], v[18:19]
	s_waitcnt vmcnt(0)
	v_fmac_f64_e32 v[32:33], v[0:1], v[18:19]
	v_fmac_f64_e32 v[22:23], v[2:3], v[18:19]
	scratch_load_dwordx4 v[0:3], off, off offset:16 ; 16-byte Folded Reload
	v_mov_b64_e32 v[98:99], v[52:53]
	v_fmac_f64_e32 v[34:35], v[94:95], v[18:19]
	v_mov_b64_e32 v[96:97], v[50:51]
	s_waitcnt vmcnt(0)
	v_fmac_f64_e32 v[24:25], v[0:1], v[18:19]
	v_fmac_f64_e32 v[26:27], v[2:3], v[18:19]
	scratch_load_dwordx4 v[0:3], off, off offset:80 ; 16-byte Folded Reload
	s_waitcnt vmcnt(0)
	v_fmac_f64_e32 v[28:29], v[0:1], v[18:19]
	v_fmac_f64_e32 v[30:31], v[2:3], v[18:19]
	scratch_load_dwordx4 v[2:5], off, off offset:64 ; 16-byte Folded Reload
	scratch_load_dwordx2 v[0:1], off, off offset:1264 ; 8-byte Folded Reload
	s_waitcnt vmcnt(0)
	v_fmac_f64_e32 v[32:33], v[2:3], v[0:1]
	v_fmac_f64_e32 v[22:23], v[4:5], v[0:1]
	scratch_load_dwordx4 v[2:5], off, off offset:48 ; 16-byte Folded Reload
	v_fmac_f64_e32 v[34:35], v[96:97], v[0:1]
	v_fmac_f64_e32 v[36:37], v[98:99], v[0:1]
	;; [unrolled: 1-line block ×6, first 2 shown]
	s_waitcnt vmcnt(0)
	v_fmac_f64_e32 v[24:25], v[2:3], v[0:1]
	v_fmac_f64_e32 v[26:27], v[4:5], v[0:1]
	scratch_load_dwordx4 v[2:5], off, off offset:144 ; 16-byte Folded Reload
	s_waitcnt vmcnt(0)
	v_fmac_f64_e32 v[28:29], v[2:3], v[0:1]
	v_fmac_f64_e32 v[30:31], v[4:5], v[0:1]
	scratch_load_dwordx4 v[0:3], off, off offset:160 ; 16-byte Folded Reload
	;; [unrolled: 4-line block ×7, first 2 shown]
	scratch_load_dwordx2 v[18:19], off, off offset:1008 ; 8-byte Folded Reload
	scratch_load_dwordx4 v[90:93], off, off offset:480 ; 16-byte Folded Reload
	s_waitcnt vmcnt(2)
	v_fmac_f64_e32 v[28:29], v[0:1], v[44:45]
	v_fmac_f64_e32 v[30:31], v[2:3], v[44:45]
	scratch_load_dwordx2 v[20:21], off, off offset:816 ; 8-byte Folded Reload
	scratch_load_dwordx4 v[0:3], off, off offset:384 ; 16-byte Folded Reload
	s_waitcnt vmcnt(2)
	v_fma_f64 v[38:39], v[90:91], v[18:19], 0
	v_fma_f64 v[44:45], v[92:93], v[18:19], 0
	v_fma_f64 v[52:53], v[108:109], v[18:19], 0
	v_fma_f64 v[94:95], v[110:111], v[18:19], 0
	v_fma_f64 v[124:125], v[104:105], v[18:19], 0
	scratch_load_dwordx4 v[8:11], off, off offset:240 ; 16-byte Folded Reload
	v_fma_f64 v[100:101], v[106:107], v[18:19], 0
	s_waitcnt vmcnt(2)
	v_fmac_f64_e32 v[52:53], v[86:87], v[20:21]
	s_waitcnt vmcnt(1)
	v_fmac_f64_e32 v[38:39], v[0:1], v[20:21]
	v_fmac_f64_e32 v[44:45], v[2:3], v[20:21]
	v_mov_b64_e32 v[0:1], v[112:113]
	v_mov_b64_e32 v[2:3], v[114:115]
	scratch_load_dwordx4 v[112:115], off, off offset:192 ; 16-byte Folded Reload
	v_fma_f64 v[46:47], v[0:1], v[18:19], 0
	v_fma_f64 v[50:51], v[2:3], v[18:19], 0
	v_fmac_f64_e32 v[94:95], v[88:89], v[20:21]
	scratch_load_dwordx2 v[18:19], off, off offset:800 ; 8-byte Folded Reload
	scratch_load_dwordx4 v[86:89], off, off offset:112 ; 16-byte Folded Reload
	scratch_load_dwordx4 v[4:7], off, off offset:208 ; 16-byte Folded Reload
	s_waitcnt vmcnt(4)
	v_fmac_f64_e32 v[124:125], v[8:9], v[20:21]
	v_fmac_f64_e32 v[100:101], v[10:11], v[20:21]
	v_mov_b64_e32 v[12:13], v[10:11]
	v_mov_b64_e32 v[10:11], v[8:9]
	scratch_load_dwordx4 v[40:43], off, off offset:176 ; 16-byte Folded Reload
	s_waitcnt vmcnt(4)
	v_fmac_f64_e32 v[46:47], v[112:113], v[20:21]
	v_fmac_f64_e32 v[50:51], v[114:115], v[20:21]
	s_waitcnt vmcnt(2)
	v_fmac_f64_e32 v[38:39], v[86:87], v[18:19]
	s_waitcnt vmcnt(1)
	v_fmac_f64_e32 v[46:47], v[4:5], v[18:19]
	v_fmac_f64_e32 v[50:51], v[6:7], v[18:19]
	scratch_load_dwordx4 v[4:7], off, off offset:256 ; 16-byte Folded Reload
	v_fmac_f64_e32 v[44:45], v[88:89], v[18:19]
	v_mov_b64_e32 v[110:111], v[88:89]
	v_mov_b64_e32 v[108:109], v[86:87]
	s_waitcnt vmcnt(0)
	v_fmac_f64_e32 v[52:53], v[4:5], v[18:19]
	v_fmac_f64_e32 v[94:95], v[6:7], v[18:19]
	scratch_load_dwordx4 v[4:7], off, off offset:304 ; 16-byte Folded Reload
	s_waitcnt vmcnt(0)
	v_fmac_f64_e32 v[124:125], v[4:5], v[18:19]
	v_fmac_f64_e32 v[100:101], v[6:7], v[18:19]
	scratch_load_dwordx2 v[18:19], off, off offset:784 ; 8-byte Folded Reload
	v_mov_b64_e32 v[4:5], v[82:83]
	v_mov_b64_e32 v[6:7], v[84:85]
	s_waitcnt vmcnt(0)
	v_fmac_f64_e32 v[38:39], v[4:5], v[18:19]
	v_fmac_f64_e32 v[44:45], v[6:7], v[18:19]
	scratch_load_dwordx4 v[4:7], off, off   ; 16-byte Folded Reload
	v_fmac_f64_e32 v[124:125], v[40:41], v[18:19]
	v_fmac_f64_e32 v[100:101], v[42:43], v[18:19]
	s_waitcnt vmcnt(0)
	v_fmac_f64_e32 v[50:51], v[6:7], v[18:19]
	scratch_load_dwordx4 v[6:9], off, off offset:464 ; 16-byte Folded Reload
	v_fmac_f64_e32 v[46:47], v[4:5], v[18:19]
	s_waitcnt vmcnt(0)
	v_fmac_f64_e32 v[52:53], v[6:7], v[18:19]
	v_fmac_f64_e32 v[94:95], v[8:9], v[18:19]
	scratch_load_dwordx2 v[18:19], off, off offset:864 ; 8-byte Folded Reload
	scratch_load_dwordx4 v[40:43], off, off offset:32 ; 16-byte Folded Reload
	v_mov_b64_e32 v[4:5], v[6:7]
	v_mov_b64_e32 v[6:7], v[8:9]
	s_waitcnt vmcnt(0)
	v_fmac_f64_e32 v[38:39], v[40:41], v[18:19]
	v_fmac_f64_e32 v[44:45], v[42:43], v[18:19]
	scratch_load_dwordx4 v[40:43], off, off offset:16 ; 16-byte Folded Reload
	s_waitcnt vmcnt(0)
	v_fmac_f64_e32 v[46:47], v[40:41], v[18:19]
	v_fmac_f64_e32 v[50:51], v[42:43], v[18:19]
	scratch_load_dwordx4 v[40:43], off, off offset:80 ; 16-byte Folded Reload
	;; [unrolled: 4-line block ×3, first 2 shown]
	s_waitcnt vmcnt(0)
	v_fmac_f64_e32 v[124:125], v[40:41], v[18:19]
	v_fmac_f64_e32 v[100:101], v[42:43], v[18:19]
	scratch_load_dwordx2 v[18:19], off, off offset:1040 ; 8-byte Folded Reload
	scratch_load_dwordx4 v[40:43], off, off offset:64 ; 16-byte Folded Reload
	s_waitcnt vmcnt(1)
	v_fmac_f64_e32 v[124:125], v[96:97], v[18:19]
	s_waitcnt vmcnt(0)
	v_fmac_f64_e32 v[38:39], v[40:41], v[18:19]
	v_fmac_f64_e32 v[44:45], v[42:43], v[18:19]
	scratch_load_dwordx4 v[40:43], off, off offset:48 ; 16-byte Folded Reload
	v_fmac_f64_e32 v[100:101], v[98:99], v[18:19]
	s_waitcnt vmcnt(0)
	v_fmac_f64_e32 v[46:47], v[40:41], v[18:19]
	v_fmac_f64_e32 v[50:51], v[42:43], v[18:19]
	scratch_load_dwordx4 v[40:43], off, off offset:144 ; 16-byte Folded Reload
	s_waitcnt vmcnt(0)
	v_fmac_f64_e32 v[52:53], v[40:41], v[18:19]
	v_fmac_f64_e32 v[94:95], v[42:43], v[18:19]
	scratch_load_dwordx4 v[18:21], off, off offset:160 ; 16-byte Folded Reload
	;; [unrolled: 4-line block ×6, first 2 shown]
	v_fmac_f64_e32 v[124:125], v[74:75], v[72:73]
	v_fmac_f64_e32 v[100:101], v[76:77], v[72:73]
	s_waitcnt vmcnt(0)
	v_fmac_f64_e32 v[38:39], v[18:19], v[72:73]
	v_fmac_f64_e32 v[44:45], v[20:21], v[72:73]
	scratch_load_dwordx4 v[18:21], off, off offset:96 ; 16-byte Folded Reload
	s_waitcnt vmcnt(0)
	v_fmac_f64_e32 v[46:47], v[18:19], v[72:73]
	v_fmac_f64_e32 v[50:51], v[20:21], v[72:73]
	scratch_load_dwordx4 v[18:21], off, off offset:288 ; 16-byte Folded Reload
	s_waitcnt vmcnt(0)
	v_fmac_f64_e32 v[52:53], v[18:19], v[72:73]
	scratch_load_dwordx2 v[18:19], off, off offset:912 ; 8-byte Folded Reload
	v_fmac_f64_e32 v[94:95], v[20:21], v[72:73]
	scratch_load_dwordx2 v[20:21], off, off offset:704 ; 8-byte Folded Reload
	scratch_load_dwordx4 v[40:43], off, off offset:384 ; 16-byte Folded Reload
	scratch_load_dwordx4 v[84:87], off, off offset:352 ; 16-byte Folded Reload
	;; [unrolled: 1-line block ×3, first 2 shown]
	s_waitcnt vmcnt(4)
	v_fma_f64 v[74:75], v[90:91], v[18:19], 0
	v_fma_f64 v[78:79], v[92:93], v[18:19], 0
	s_waitcnt vmcnt(2)
	v_fmac_f64_e32 v[74:75], v[40:41], v[20:21]
	v_fmac_f64_e32 v[78:79], v[42:43], v[20:21]
	scratch_load_dwordx4 v[40:43], off, off offset:224 ; 16-byte Folded Reload
	v_fma_f64 v[56:57], v[106:107], v[18:19], 0
	v_fmac_f64_e32 v[56:57], v[12:13], v[20:21]
	s_waitcnt vmcnt(0)
	v_fma_f64 v[82:83], v[40:41], v[18:19], 0
	v_fma_f64 v[96:97], v[42:43], v[18:19], 0
	scratch_load_dwordx4 v[40:43], off, off offset:320 ; 16-byte Folded Reload
	v_fma_f64 v[102:103], v[84:85], v[18:19], 0
	v_fmac_f64_e32 v[82:83], v[112:113], v[20:21]
	v_fmac_f64_e32 v[96:97], v[114:115], v[20:21]
	s_waitcnt vmcnt(0)
	v_fmac_f64_e32 v[102:103], v[40:41], v[20:21]
	v_fma_f64 v[40:41], v[86:87], v[18:19], 0
	v_fmac_f64_e32 v[40:41], v[42:43], v[20:21]
	v_fma_f64 v[42:43], v[104:105], v[18:19], 0
	scratch_load_dwordx2 v[18:19], off, off offset:688 ; 8-byte Folded Reload
	v_fmac_f64_e32 v[42:43], v[10:11], v[20:21]
	s_waitcnt vmcnt(0)
	v_fmac_f64_e32 v[82:83], v[0:1], v[18:19]
	v_fmac_f64_e32 v[96:97], v[2:3], v[18:19]
	scratch_load_dwordx4 v[0:3], off, off offset:256 ; 16-byte Folded Reload
	v_fmac_f64_e32 v[74:75], v[108:109], v[18:19]
	v_fmac_f64_e32 v[78:79], v[110:111], v[18:19]
	s_waitcnt vmcnt(0)
	v_fmac_f64_e32 v[102:103], v[0:1], v[18:19]
	v_fmac_f64_e32 v[40:41], v[2:3], v[18:19]
	scratch_load_dwordx4 v[0:3], off, off offset:304 ; 16-byte Folded Reload
	s_waitcnt vmcnt(0)
	v_fmac_f64_e32 v[42:43], v[0:1], v[18:19]
	v_fmac_f64_e32 v[56:57], v[2:3], v[18:19]
	scratch_load_dwordx2 v[18:19], off, off offset:752 ; 8-byte Folded Reload
	scratch_load_dwordx4 v[0:3], off, off offset:368 ; 16-byte Folded Reload
	s_waitcnt vmcnt(1)
	v_fmac_f64_e32 v[102:103], v[4:5], v[18:19]
	s_waitcnt vmcnt(0)
	v_fmac_f64_e32 v[74:75], v[0:1], v[18:19]
	v_fmac_f64_e32 v[78:79], v[2:3], v[18:19]
	scratch_load_dwordx4 v[0:3], off, off   ; 16-byte Folded Reload
	v_fmac_f64_e32 v[40:41], v[6:7], v[18:19]
	s_waitcnt vmcnt(0)
	v_fmac_f64_e32 v[82:83], v[0:1], v[18:19]
	v_fmac_f64_e32 v[96:97], v[2:3], v[18:19]
	scratch_load_dwordx4 v[0:3], off, off offset:176 ; 16-byte Folded Reload
	s_waitcnt vmcnt(0)
	v_fmac_f64_e32 v[42:43], v[0:1], v[18:19]
	v_fmac_f64_e32 v[56:57], v[2:3], v[18:19]
	scratch_load_dwordx2 v[18:19], off, off offset:768 ; 8-byte Folded Reload
	scratch_load_dwordx4 v[10:13], off, off offset:32 ; 16-byte Folded Reload
	scratch_load_dwordx4 v[0:3], off, off offset:16 ; 16-byte Folded Reload
	s_waitcnt vmcnt(1)
	v_fmac_f64_e32 v[74:75], v[10:11], v[18:19]
	s_waitcnt vmcnt(0)
	v_fmac_f64_e32 v[82:83], v[0:1], v[18:19]
	v_fmac_f64_e32 v[96:97], v[2:3], v[18:19]
	scratch_load_dwordx4 v[0:3], off, off offset:80 ; 16-byte Folded Reload
	v_fmac_f64_e32 v[78:79], v[12:13], v[18:19]
	s_waitcnt vmcnt(0)
	v_fmac_f64_e32 v[102:103], v[0:1], v[18:19]
	v_fmac_f64_e32 v[40:41], v[2:3], v[18:19]
	scratch_load_dwordx4 v[0:3], off, off offset:128 ; 16-byte Folded Reload
	s_waitcnt vmcnt(0)
	v_fmac_f64_e32 v[42:43], v[0:1], v[18:19]
	v_fmac_f64_e32 v[56:57], v[2:3], v[18:19]
	scratch_load_dwordx2 v[18:19], off, off offset:736 ; 8-byte Folded Reload
	scratch_load_dwordx4 v[0:3], off, off offset:64 ; 16-byte Folded Reload
	scratch_load_dwordx4 v[108:111], off, off offset:48 ; 16-byte Folded Reload
	s_waitcnt vmcnt(1)
	v_fmac_f64_e32 v[74:75], v[0:1], v[18:19]
	v_fmac_f64_e32 v[78:79], v[2:3], v[18:19]
	scratch_load_dwordx4 v[0:3], off, off offset:144 ; 16-byte Folded Reload
	s_waitcnt vmcnt(1)
	v_fmac_f64_e32 v[82:83], v[108:109], v[18:19]
	v_fmac_f64_e32 v[96:97], v[110:111], v[18:19]
	s_waitcnt vmcnt(0)
	v_fmac_f64_e32 v[102:103], v[0:1], v[18:19]
	v_fmac_f64_e32 v[40:41], v[2:3], v[18:19]
	scratch_load_dwordx4 v[0:3], off, off offset:432 ; 16-byte Folded Reload
	s_waitcnt vmcnt(0)
	v_fmac_f64_e32 v[42:43], v[0:1], v[18:19]
	v_fmac_f64_e32 v[56:57], v[2:3], v[18:19]
	scratch_load_dwordx2 v[18:19], off, off offset:640 ; 8-byte Folded Reload
	scratch_load_dwordx4 v[0:3], off, off offset:160 ; 16-byte Folded Reload
	scratch_load_dwordx4 v[84:87], off, off offset:448 ; 16-byte Folded Reload
	;; [unrolled: 1-line block ×3, first 2 shown]
	s_waitcnt vmcnt(2)
	v_fmac_f64_e32 v[74:75], v[0:1], v[18:19]
	v_fmac_f64_e32 v[78:79], v[2:3], v[18:19]
	scratch_load_dwordx4 v[0:3], off, off offset:336 ; 16-byte Folded Reload
	s_waitcnt vmcnt(2)
	v_fmac_f64_e32 v[82:83], v[84:85], v[18:19]
	v_fmac_f64_e32 v[96:97], v[86:87], v[18:19]
	s_waitcnt vmcnt(1)
	v_fmac_f64_e32 v[42:43], v[6:7], v[18:19]
	v_fmac_f64_e32 v[56:57], v[8:9], v[18:19]
	s_waitcnt vmcnt(0)
	v_fmac_f64_e32 v[102:103], v[0:1], v[18:19]
	v_fmac_f64_e32 v[40:41], v[2:3], v[18:19]
	scratch_load_dwordx4 v[0:3], off, off offset:400 ; 16-byte Folded Reload
	scratch_load_dwordx2 v[4:5], off, off offset:1256 ; 8-byte Folded Reload
	scratch_load_dwordx2 v[18:19], off, off offset:896 ; 8-byte Folded Reload
	s_waitcnt vmcnt(1)
	v_fmac_f64_e32 v[74:75], v[0:1], v[4:5]
	v_fmac_f64_e32 v[78:79], v[2:3], v[4:5]
	scratch_load_dwordx4 v[0:3], off, off offset:96 ; 16-byte Folded Reload
	s_waitcnt vmcnt(1)
	v_fma_f64 v[76:77], v[90:91], v[18:19], 0
	v_fma_f64 v[90:91], v[92:93], v[18:19], 0
	;; [unrolled: 1-line block ×4, first 2 shown]
	s_waitcnt vmcnt(0)
	v_fmac_f64_e32 v[82:83], v[0:1], v[4:5]
	v_fmac_f64_e32 v[96:97], v[2:3], v[4:5]
	scratch_load_dwordx4 v[0:3], off, off offset:288 ; 16-byte Folded Reload
	s_waitcnt vmcnt(0)
	v_fmac_f64_e32 v[102:103], v[0:1], v[4:5]
	v_fmac_f64_e32 v[40:41], v[2:3], v[4:5]
	scratch_load_dwordx4 v[0:3], off, off offset:272 ; 16-byte Folded Reload
	s_waitcnt vmcnt(0)
	v_fmac_f64_e32 v[42:43], v[0:1], v[4:5]
	v_fmac_f64_e32 v[56:57], v[2:3], v[4:5]
	scratch_load_dwordx2 v[20:21], off, off offset:576 ; 8-byte Folded Reload
	scratch_load_dwordx4 v[0:3], off, off offset:384 ; 16-byte Folded Reload
	s_waitcnt vmcnt(0)
	v_fmac_f64_e32 v[76:77], v[0:1], v[20:21]
	v_fmac_f64_e32 v[90:91], v[2:3], v[20:21]
	scratch_load_dwordx4 v[0:3], off, off offset:224 ; 16-byte Folded Reload
	s_waitcnt vmcnt(0)
	v_fma_f64 v[98:99], v[2:3], v[18:19], 0
	scratch_load_dwordx4 v[2:5], off, off offset:352 ; 16-byte Folded Reload
	v_fma_f64 v[92:93], v[0:1], v[18:19], 0
	v_fmac_f64_e32 v[92:93], v[112:113], v[20:21]
	v_fmac_f64_e32 v[98:99], v[114:115], v[20:21]
	s_waitcnt vmcnt(0)
	v_fma_f64 v[112:113], v[2:3], v[18:19], 0
	scratch_load_dwordx4 v[0:3], off, off offset:320 ; 16-byte Folded Reload
	v_fma_f64 v[118:119], v[4:5], v[18:19], 0
	s_waitcnt vmcnt(0)
	v_fmac_f64_e32 v[112:113], v[0:1], v[20:21]
	v_fmac_f64_e32 v[118:119], v[2:3], v[20:21]
	scratch_load_dwordx4 v[0:3], off, off offset:240 ; 16-byte Folded Reload
	s_waitcnt vmcnt(0)
	v_fmac_f64_e32 v[126:127], v[0:1], v[20:21]
	v_fmac_f64_e32 v[106:107], v[2:3], v[20:21]
	scratch_load_dwordx2 v[18:19], off, off offset:560 ; 8-byte Folded Reload
	scratch_load_dwordx4 v[0:3], off, off offset:112 ; 16-byte Folded Reload
	s_waitcnt vmcnt(0)
	v_fmac_f64_e32 v[76:77], v[0:1], v[18:19]
	v_fmac_f64_e32 v[90:91], v[2:3], v[18:19]
	scratch_load_dwordx4 v[0:3], off, off offset:208 ; 16-byte Folded Reload
	s_waitcnt vmcnt(0)
	v_fmac_f64_e32 v[92:93], v[0:1], v[18:19]
	v_fmac_f64_e32 v[98:99], v[2:3], v[18:19]
	;; [unrolled: 4-line block ×4, first 2 shown]
	scratch_load_dwordx2 v[4:5], off, off offset:672 ; 8-byte Folded Reload
	scratch_load_dwordx4 v[0:3], off, off offset:368 ; 16-byte Folded Reload
	s_waitcnt vmcnt(0)
	v_fmac_f64_e32 v[76:77], v[0:1], v[4:5]
	v_fmac_f64_e32 v[90:91], v[2:3], v[4:5]
	scratch_load_dwordx4 v[0:3], off, off   ; 16-byte Folded Reload
	s_waitcnt vmcnt(0)
	v_fmac_f64_e32 v[92:93], v[0:1], v[4:5]
	v_fmac_f64_e32 v[98:99], v[2:3], v[4:5]
	scratch_load_dwordx4 v[0:3], off, off offset:464 ; 16-byte Folded Reload
	s_waitcnt vmcnt(0)
	v_fmac_f64_e32 v[112:113], v[0:1], v[4:5]
	v_fmac_f64_e32 v[118:119], v[2:3], v[4:5]
	scratch_load_dwordx4 v[0:3], off, off offset:176 ; 16-byte Folded Reload
	s_waitcnt vmcnt(0)
	v_fmac_f64_e32 v[126:127], v[0:1], v[4:5]
	v_fmac_f64_e32 v[106:107], v[2:3], v[4:5]
	scratch_load_dwordx2 v[4:5], off, off offset:512 ; 8-byte Folded Reload
	scratch_load_dwordx4 v[0:3], off, off offset:16 ; 16-byte Folded Reload
	s_waitcnt vmcnt(1)
	v_fmac_f64_e32 v[76:77], v[10:11], v[4:5]
	s_waitcnt vmcnt(0)
	v_fmac_f64_e32 v[92:93], v[0:1], v[4:5]
	v_fmac_f64_e32 v[98:99], v[2:3], v[4:5]
	scratch_load_dwordx4 v[0:3], off, off offset:80 ; 16-byte Folded Reload
	v_fmac_f64_e32 v[90:91], v[12:13], v[4:5]
	s_waitcnt vmcnt(0)
	v_fmac_f64_e32 v[112:113], v[0:1], v[4:5]
	v_fmac_f64_e32 v[118:119], v[2:3], v[4:5]
	scratch_load_dwordx4 v[0:3], off, off offset:128 ; 16-byte Folded Reload
	s_waitcnt vmcnt(0)
	v_fmac_f64_e32 v[126:127], v[0:1], v[4:5]
	v_fmac_f64_e32 v[106:107], v[2:3], v[4:5]
	scratch_load_dwordx2 v[4:5], off, off offset:528 ; 8-byte Folded Reload
	scratch_load_dwordx4 v[0:3], off, off offset:64 ; 16-byte Folded Reload
	s_waitcnt vmcnt(1)
	v_fmac_f64_e32 v[92:93], v[108:109], v[4:5]
	s_waitcnt vmcnt(0)
	v_fmac_f64_e32 v[76:77], v[0:1], v[4:5]
	v_fmac_f64_e32 v[90:91], v[2:3], v[4:5]
	scratch_load_dwordx4 v[0:3], off, off offset:144 ; 16-byte Folded Reload
	v_fmac_f64_e32 v[98:99], v[110:111], v[4:5]
	;; [unrolled: 16-line block ×3, first 2 shown]
	v_fmac_f64_e32 v[126:127], v[6:7], v[4:5]
	v_fmac_f64_e32 v[106:107], v[8:9], v[4:5]
	s_waitcnt vmcnt(0)
	v_fmac_f64_e32 v[112:113], v[0:1], v[4:5]
	v_fmac_f64_e32 v[118:119], v[2:3], v[4:5]
	scratch_load_dwordx2 v[0:1], off, off offset:1248 ; 8-byte Folded Reload
	scratch_load_dwordx4 v[2:5], off, off offset:400 ; 16-byte Folded Reload
	s_waitcnt vmcnt(0)
	v_fmac_f64_e32 v[76:77], v[2:3], v[0:1]
	v_fmac_f64_e32 v[90:91], v[4:5], v[0:1]
	scratch_load_dwordx4 v[2:5], off, off offset:96 ; 16-byte Folded Reload
	s_waitcnt vmcnt(0)
	v_fmac_f64_e32 v[92:93], v[2:3], v[0:1]
	v_fmac_f64_e32 v[98:99], v[4:5], v[0:1]
	;; [unrolled: 4-line block ×3, first 2 shown]
	scratch_load_dwordx4 v[2:5], off, off offset:272 ; 16-byte Folded Reload
	s_waitcnt vmcnt(0)
	v_fmac_f64_e32 v[106:107], v[4:5], v[0:1]
	scratch_load_dwordx4 v[108:111], off, off offset:2088 ; 16-byte Folded Reload
	scratch_load_dwordx2 v[4:5], off, off offset:880 ; 8-byte Folded Reload
	v_fmac_f64_e32 v[126:127], v[2:3], v[0:1]
	s_waitcnt vmcnt(0)
	v_add_f64 v[6:7], v[108:109], v[4:5]
	scratch_load_dwordx2 v[4:5], off, off offset:1168 ; 8-byte Folded Reload
	s_waitcnt vmcnt(0)
	v_add_f64 v[8:9], v[110:111], v[4:5]
	scratch_store_dwordx4 off, v[6:9], off offset:1008 ; 16-byte Folded Spill
	scratch_load_dwordx4 v[108:111], off, off offset:2072 ; 16-byte Folded Reload
	scratch_load_dwordx2 v[0:1], off, off offset:1192 ; 8-byte Folded Reload
	scratch_load_dwordx4 v[86:89], off, off offset:2056 ; 16-byte Folded Reload
	s_waitcnt vmcnt(2)
	v_add_f64 v[6:7], v[110:111], v[14:15]
	s_waitcnt vmcnt(1)
	v_add_f64 v[4:5], v[108:109], v[0:1]
	scratch_store_dwordx4 off, v[4:7], off offset:912 ; 16-byte Folded Spill
	s_waitcnt vmcnt(1)
	s_nop 0
	v_add_f64 v[4:5], v[86:87], v[32:33]
	v_add_f64 v[6:7], v[88:89], v[38:39]
	scratch_load_dwordx4 v[86:89], off, off offset:2040 ; 16-byte Folded Reload
	s_waitcnt vmcnt(0)
	v_add_f64 v[108:109], v[86:87], v[74:75]
	scratch_store_dwordx4 off, v[4:7], off offset:896 ; 16-byte Folded Spill
	scratch_load_dwordx4 v[72:75], off, off offset:2152 ; 16-byte Folded Reload
	scratch_load_dwordx2 v[0:1], off, off offset:848 ; 8-byte Folded Reload
	v_add_f64 v[110:111], v[88:89], v[76:77]
	s_waitcnt vmcnt(0)
	v_add_f64 v[4:5], v[72:73], v[0:1]
	scratch_load_dwordx2 v[0:1], off, off offset:1152 ; 8-byte Folded Reload
	s_waitcnt vmcnt(0)
	v_add_f64 v[6:7], v[74:75], v[0:1]
	scratch_load_dwordx4 v[72:75], off, off offset:2136 ; 16-byte Folded Reload
	s_nop 0
	scratch_store_dwordx4 off, v[4:7], off offset:816 ; 16-byte Folded Spill
	s_waitcnt vmcnt(1)
	s_nop 0
	v_add_f64 v[4:5], v[72:73], v[122:123]
	v_add_f64 v[6:7], v[74:75], v[58:59]
	scratch_load_dwordx4 v[72:75], off, off offset:2120 ; 16-byte Folded Reload
	s_nop 0
	scratch_store_dwordx4 off, v[4:7], off offset:704 ; 16-byte Folded Spill
	s_waitcnt vmcnt(1)
	s_nop 0
	v_add_f64 v[4:5], v[72:73], v[22:23]
	;; [unrolled: 7-line block ×3, first 2 shown]
	v_add_f64 v[6:7], v[74:75], v[90:91]
	scratch_store_dwordx4 off, v[4:7], off offset:576 ; 16-byte Folded Spill
	scratch_load_dwordx4 v[72:75], off, off offset:2216 ; 16-byte Folded Reload
	scratch_load_dwordx2 v[0:1], off, off offset:832 ; 8-byte Folded Reload
	s_waitcnt vmcnt(0)
	v_add_f64 v[4:5], v[72:73], v[0:1]
	scratch_load_dwordx2 v[0:1], off, off offset:1136 ; 8-byte Folded Reload
	s_waitcnt vmcnt(0)
	v_add_f64 v[6:7], v[74:75], v[0:1]
	scratch_load_dwordx4 v[72:75], off, off offset:2200 ; 16-byte Folded Reload
	s_nop 0
	scratch_store_dwordx4 off, v[4:7], off offset:672 ; 16-byte Folded Spill
	s_waitcnt vmcnt(1)
	s_nop 0
	v_add_f64 v[4:5], v[72:73], v[68:69]
	v_add_f64 v[6:7], v[74:75], v[54:55]
	scratch_load_dwordx4 v[72:75], off, off offset:2184 ; 16-byte Folded Reload
	s_nop 0
	scratch_store_dwordx4 off, v[4:7], off offset:560 ; 16-byte Folded Spill
	s_waitcnt vmcnt(1)
	s_nop 0
	v_add_f64 v[4:5], v[72:73], v[24:25]
	scratch_load_dwordx4 v[22:25], off, off offset:2168 ; 16-byte Folded Reload
	v_add_f64 v[6:7], v[74:75], v[46:47]
	scratch_store_dwordx4 off, v[4:7], off offset:800 ; 16-byte Folded Spill
	s_waitcnt vmcnt(1)
	s_nop 0
	v_add_f64 v[4:5], v[22:23], v[82:83]
	v_add_f64 v[6:7], v[24:25], v[92:93]
	scratch_store_dwordx4 off, v[4:7], off offset:784 ; 16-byte Folded Spill
	scratch_load_dwordx4 v[22:25], off, off offset:2280 ; 16-byte Folded Reload
	scratch_load_dwordx2 v[0:1], off, off offset:720 ; 8-byte Folded Reload
	s_waitcnt vmcnt(0)
	v_add_f64 v[4:5], v[22:23], v[0:1]
	scratch_load_dwordx2 v[0:1], off, off offset:1128 ; 8-byte Folded Reload
	s_waitcnt vmcnt(0)
	v_add_f64 v[6:7], v[24:25], v[0:1]
	scratch_load_dwordx4 v[22:25], off, off offset:2264 ; 16-byte Folded Reload
	s_nop 0
	scratch_store_dwordx4 off, v[4:7], off offset:768 ; 16-byte Folded Spill
	s_waitcnt vmcnt(1)
	s_nop 0
	v_add_f64 v[4:5], v[22:23], v[66:67]
	v_add_f64 v[6:7], v[24:25], v[120:121]
	scratch_load_dwordx4 v[22:25], off, off offset:2248 ; 16-byte Folded Reload
	s_nop 0
	scratch_store_dwordx4 off, v[4:7], off offset:880 ; 16-byte Folded Spill
	s_waitcnt vmcnt(1)
	s_nop 0
	v_add_f64 v[4:5], v[22:23], v[26:27]
	;; [unrolled: 7-line block ×3, first 2 shown]
	v_add_f64 v[6:7], v[24:25], v[98:99]
	scratch_store_dwordx4 off, v[4:7], off offset:864 ; 16-byte Folded Spill
	scratch_load_dwordx4 v[22:25], off, off offset:2344 ; 16-byte Folded Reload
	scratch_load_dwordx2 v[0:1], off, off offset:656 ; 8-byte Folded Reload
	s_waitcnt vmcnt(0)
	v_add_f64 v[4:5], v[22:23], v[0:1]
	scratch_load_dwordx2 v[0:1], off, off offset:960 ; 8-byte Folded Reload
	s_waitcnt vmcnt(0)
	v_add_f64 v[6:7], v[24:25], v[0:1]
	scratch_load_dwordx4 v[22:25], off, off offset:2328 ; 16-byte Folded Reload
	s_nop 0
	scratch_store_dwordx4 off, v[4:7], off offset:528 ; 16-byte Folded Spill
	s_waitcnt vmcnt(1)
	s_nop 0
	v_add_f64 v[4:5], v[22:23], v[64:65]
	v_add_f64 v[6:7], v[24:25], v[48:49]
	scratch_load_dwordx4 v[22:25], off, off offset:2312 ; 16-byte Folded Reload
	s_waitcnt vmcnt(0)
	v_add_f64 v[50:51], v[22:23], v[28:29]
	v_add_f64 v[52:53], v[24:25], v[52:53]
	scratch_load_dwordx4 v[22:25], off, off offset:2296 ; 16-byte Folded Reload
	v_mov_b64_e32 v[88:89], v[52:53]
	scratch_store_dwordx4 off, v[4:7], off offset:592 ; 16-byte Folded Spill
	v_mov_b64_e32 v[86:87], v[50:51]
	s_waitcnt vmcnt(1)
	v_add_f64 v[4:5], v[22:23], v[102:103]
	v_add_f64 v[6:7], v[24:25], v[112:113]
	scratch_store_dwordx4 off, v[4:7], off offset:512 ; 16-byte Folded Spill
	scratch_load_dwordx4 v[22:25], off, off offset:2408 ; 16-byte Folded Reload
	scratch_load_dwordx2 v[0:1], off, off offset:624 ; 8-byte Folded Reload
	s_waitcnt vmcnt(0)
	v_add_f64 v[4:5], v[22:23], v[0:1]
	scratch_load_dwordx2 v[0:1], off, off offset:944 ; 8-byte Folded Reload
	s_waitcnt vmcnt(0)
	v_add_f64 v[6:7], v[24:25], v[0:1]
	scratch_load_dwordx4 v[22:25], off, off offset:2392 ; 16-byte Folded Reload
	s_nop 0
	scratch_store_dwordx4 off, v[4:7], off offset:736 ; 16-byte Folded Spill
	s_waitcnt vmcnt(1)
	s_nop 0
	v_add_f64 v[4:5], v[22:23], v[62:63]
	v_add_f64 v[6:7], v[24:25], v[70:71]
	scratch_load_dwordx4 v[22:25], off, off offset:2376 ; 16-byte Folded Reload
	s_nop 0
	scratch_store_dwordx4 off, v[4:7], off offset:848 ; 16-byte Folded Spill
	s_waitcnt vmcnt(1)
	s_nop 0
	v_add_f64 v[4:5], v[22:23], v[30:31]
	;; [unrolled: 7-line block ×3, first 2 shown]
	v_add_f64 v[6:7], v[24:25], v[118:119]
	scratch_store_dwordx4 off, v[4:7], off offset:960 ; 16-byte Folded Spill
	scratch_load_dwordx4 v[22:25], off, off offset:2472 ; 16-byte Folded Reload
	scratch_load_dwordx2 v[0:1], off, off offset:608 ; 8-byte Folded Reload
	s_waitcnt vmcnt(0)
	v_add_f64 v[4:5], v[22:23], v[0:1]
	scratch_load_dwordx2 v[0:1], off, off offset:928 ; 8-byte Folded Reload
	s_waitcnt vmcnt(0)
	v_add_f64 v[6:7], v[24:25], v[0:1]
	scratch_load_dwordx4 v[22:25], off, off offset:2456 ; 16-byte Folded Reload
	s_waitcnt vmcnt(0)
	v_add_f64 v[0:1], v[22:23], v[60:61]
	v_add_f64 v[2:3], v[24:25], v[16:17]
	scratch_load_dwordx4 v[22:25], off, off offset:2440 ; 16-byte Folded Reload
	s_nop 0
	scratch_store_dwordx4 off, v[0:3], off offset:640 ; 16-byte Folded Spill
	scratch_store_dwordx4 off, v[4:7], off offset:656 ; 16-byte Folded Spill
	s_waitcnt vmcnt(2)
	v_add_f64 v[0:1], v[22:23], v[34:35]
	v_add_f64 v[2:3], v[24:25], v[124:125]
	scratch_load_dwordx4 v[22:25], off, off offset:2424 ; 16-byte Folded Reload
	s_nop 0
	scratch_store_dwordx4 off, v[0:3], off offset:624 ; 16-byte Folded Spill
	s_waitcnt vmcnt(1)
	s_nop 0
	v_add_f64 v[0:1], v[22:23], v[42:43]
	v_add_f64 v[2:3], v[24:25], v[126:127]
	scratch_store_dwordx4 off, v[0:3], off offset:608 ; 16-byte Folded Spill
	scratch_load_dwordx4 v[22:25], off, off offset:2536 ; 16-byte Folded Reload
	s_nop 0
	scratch_load_dwordx2 v[0:1], off, off offset:496 ; 8-byte Folded Reload
	scratch_load_dwordx2 v[2:3], off, off offset:1240 ; 8-byte Folded Reload
	scratch_load_dwordx4 v[18:21], off, off offset:2504 ; 16-byte Folded Reload
	s_waitcnt vmcnt(2)
	v_add_f64 v[0:1], v[22:23], v[0:1]
	s_waitcnt vmcnt(0)
	v_add_f64 v[74:75], v[18:19], v[36:37]
	v_add_f64 v[76:77], v[20:21], v[100:101]
	scratch_load_dwordx4 v[18:21], off, off offset:2488 ; 16-byte Folded Reload
	v_add_f64 v[2:3], v[24:25], v[2:3]
	scratch_load_dwordx4 v[22:25], off, off offset:2520 ; 16-byte Folded Reload
	s_waitcnt vmcnt(1)
	v_add_f64 v[124:125], v[18:19], v[56:57]
	scratch_store_dwordx4 off, v[0:3], off offset:496 ; 16-byte Folded Spill
	v_add_f64 v[126:127], v[20:21], v[106:107]
	s_waitcnt vmcnt(1)
	v_add_f64 v[0:1], v[22:23], v[116:117]
	v_add_f64 v[2:3], v[24:25], v[80:81]
	scratch_store_dwordx4 off, v[0:3], off offset:720 ; 16-byte Folded Spill
	scratch_load_dwordx4 v[54:57], off, off offset:1048 ; 16-byte Folded Reload
	scratch_load_dwordx4 v[58:61], off, off offset:1064 ; 16-byte Folded Reload
	;; [unrolled: 1-line block ×4, first 2 shown]
	scratch_load_dwordx2 v[16:17], off, off offset:976 ; 8-byte Folded Reload
	s_branch .LBB0_42
.LBB0_52:
	s_endpgm
	.section	.rodata,"a",@progbits
	.p2align	6, 0x0
	.amdhsa_kernel _Z6kalmanILi8EEvPKdiS1_S1_S1_S1_S1_bS1_iPdS2_S2_iiS2_bS2_
		.amdhsa_group_segment_fixed_size 0
		.amdhsa_private_segment_fixed_size 2628
		.amdhsa_kernarg_size 392
		.amdhsa_user_sgpr_count 2
		.amdhsa_user_sgpr_dispatch_ptr 0
		.amdhsa_user_sgpr_queue_ptr 0
		.amdhsa_user_sgpr_kernarg_segment_ptr 1
		.amdhsa_user_sgpr_dispatch_id 0
		.amdhsa_user_sgpr_kernarg_preload_length 0
		.amdhsa_user_sgpr_kernarg_preload_offset 0
		.amdhsa_user_sgpr_private_segment_size 0
		.amdhsa_uses_dynamic_stack 0
		.amdhsa_enable_private_segment 1
		.amdhsa_system_sgpr_workgroup_id_x 1
		.amdhsa_system_sgpr_workgroup_id_y 0
		.amdhsa_system_sgpr_workgroup_id_z 0
		.amdhsa_system_sgpr_workgroup_info 0
		.amdhsa_system_vgpr_workitem_id 0
		.amdhsa_next_free_vgpr 128
		.amdhsa_next_free_sgpr 30
		.amdhsa_accum_offset 128
		.amdhsa_reserve_vcc 1
		.amdhsa_float_round_mode_32 0
		.amdhsa_float_round_mode_16_64 0
		.amdhsa_float_denorm_mode_32 3
		.amdhsa_float_denorm_mode_16_64 3
		.amdhsa_dx10_clamp 1
		.amdhsa_ieee_mode 1
		.amdhsa_fp16_overflow 0
		.amdhsa_tg_split 0
		.amdhsa_exception_fp_ieee_invalid_op 0
		.amdhsa_exception_fp_denorm_src 0
		.amdhsa_exception_fp_ieee_div_zero 0
		.amdhsa_exception_fp_ieee_overflow 0
		.amdhsa_exception_fp_ieee_underflow 0
		.amdhsa_exception_fp_ieee_inexact 0
		.amdhsa_exception_int_div_zero 0
	.end_amdhsa_kernel
	.section	.text._Z6kalmanILi8EEvPKdiS1_S1_S1_S1_S1_bS1_iPdS2_S2_iiS2_bS2_,"axG",@progbits,_Z6kalmanILi8EEvPKdiS1_S1_S1_S1_S1_bS1_iPdS2_S2_iiS2_bS2_,comdat
.Lfunc_end0:
	.size	_Z6kalmanILi8EEvPKdiS1_S1_S1_S1_S1_bS1_iPdS2_S2_iiS2_bS2_, .Lfunc_end0-_Z6kalmanILi8EEvPKdiS1_S1_S1_S1_S1_bS1_iPdS2_S2_iiS2_bS2_
                                        ; -- End function
	.section	.AMDGPU.csdata,"",@progbits
; Kernel info:
; codeLenInByte = 37352
; NumSgprs: 36
; NumVgprs: 128
; NumAgprs: 0
; TotalNumVgprs: 128
; ScratchSize: 2628
; MemoryBound: 0
; FloatMode: 240
; IeeeMode: 1
; LDSByteSize: 0 bytes/workgroup (compile time only)
; SGPRBlocks: 4
; VGPRBlocks: 15
; NumSGPRsForWavesPerEU: 36
; NumVGPRsForWavesPerEU: 128
; AccumOffset: 128
; Occupancy: 4
; WaveLimiterHint : 0
; COMPUTE_PGM_RSRC2:SCRATCH_EN: 1
; COMPUTE_PGM_RSRC2:USER_SGPR: 2
; COMPUTE_PGM_RSRC2:TRAP_HANDLER: 0
; COMPUTE_PGM_RSRC2:TGID_X_EN: 1
; COMPUTE_PGM_RSRC2:TGID_Y_EN: 0
; COMPUTE_PGM_RSRC2:TGID_Z_EN: 0
; COMPUTE_PGM_RSRC2:TIDIG_COMP_CNT: 0
; COMPUTE_PGM_RSRC3_GFX90A:ACCUM_OFFSET: 31
; COMPUTE_PGM_RSRC3_GFX90A:TG_SPLIT: 0
	.text
	.p2alignl 6, 3212836864
	.fill 256, 4, 3212836864
	.type	__hip_cuid_5b85bf3bb94a9447,@object ; @__hip_cuid_5b85bf3bb94a9447
	.section	.bss,"aw",@nobits
	.globl	__hip_cuid_5b85bf3bb94a9447
__hip_cuid_5b85bf3bb94a9447:
	.byte	0                               ; 0x0
	.size	__hip_cuid_5b85bf3bb94a9447, 1

	.ident	"AMD clang version 19.0.0git (https://github.com/RadeonOpenCompute/llvm-project roc-6.4.0 25133 c7fe45cf4b819c5991fe208aaa96edf142730f1d)"
	.section	".note.GNU-stack","",@progbits
	.addrsig
	.addrsig_sym __hip_cuid_5b85bf3bb94a9447
	.amdgpu_metadata
---
amdhsa.kernels:
  - .agpr_count:     0
    .args:
      - .actual_access:  read_only
        .address_space:  global
        .offset:         0
        .size:           8
        .value_kind:     global_buffer
      - .offset:         8
        .size:           4
        .value_kind:     by_value
      - .actual_access:  read_only
        .address_space:  global
        .offset:         16
        .size:           8
        .value_kind:     global_buffer
      - .actual_access:  read_only
        .address_space:  global
        .offset:         24
        .size:           8
        .value_kind:     global_buffer
      - .actual_access:  read_only
        .address_space:  global
        .offset:         32
        .size:           8
        .value_kind:     global_buffer
      - .actual_access:  read_only
        .address_space:  global
        .offset:         40
        .size:           8
        .value_kind:     global_buffer
      - .actual_access:  read_only
        .address_space:  global
        .offset:         48
        .size:           8
        .value_kind:     global_buffer
      - .offset:         56
        .size:           1
        .value_kind:     by_value
      - .actual_access:  read_only
        .address_space:  global
        .offset:         64
        .size:           8
        .value_kind:     global_buffer
      - .offset:         72
        .size:           4
        .value_kind:     by_value
      - .actual_access:  write_only
        .address_space:  global
        .offset:         80
        .size:           8
        .value_kind:     global_buffer
      - .actual_access:  write_only
        .address_space:  global
        .offset:         88
        .size:           8
        .value_kind:     global_buffer
      - .actual_access:  write_only
        .address_space:  global
        .offset:         96
        .size:           8
        .value_kind:     global_buffer
      - .offset:         104
        .size:           4
        .value_kind:     by_value
      - .offset:         108
        .size:           4
        .value_kind:     by_value
      - .actual_access:  write_only
        .address_space:  global
        .offset:         112
        .size:           8
        .value_kind:     global_buffer
      - .offset:         120
        .size:           1
        .value_kind:     by_value
      - .address_space:  global
        .offset:         128
        .size:           8
        .value_kind:     global_buffer
      - .offset:         136
        .size:           4
        .value_kind:     hidden_block_count_x
      - .offset:         140
        .size:           4
        .value_kind:     hidden_block_count_y
      - .offset:         144
        .size:           4
        .value_kind:     hidden_block_count_z
      - .offset:         148
        .size:           2
        .value_kind:     hidden_group_size_x
      - .offset:         150
        .size:           2
        .value_kind:     hidden_group_size_y
      - .offset:         152
        .size:           2
        .value_kind:     hidden_group_size_z
      - .offset:         154
        .size:           2
        .value_kind:     hidden_remainder_x
      - .offset:         156
        .size:           2
        .value_kind:     hidden_remainder_y
      - .offset:         158
        .size:           2
        .value_kind:     hidden_remainder_z
      - .offset:         176
        .size:           8
        .value_kind:     hidden_global_offset_x
      - .offset:         184
        .size:           8
        .value_kind:     hidden_global_offset_y
      - .offset:         192
        .size:           8
        .value_kind:     hidden_global_offset_z
      - .offset:         200
        .size:           2
        .value_kind:     hidden_grid_dims
    .group_segment_fixed_size: 0
    .kernarg_segment_align: 8
    .kernarg_segment_size: 392
    .language:       OpenCL C
    .language_version:
      - 2
      - 0
    .max_flat_workgroup_size: 1024
    .name:           _Z6kalmanILi8EEvPKdiS1_S1_S1_S1_S1_bS1_iPdS2_S2_iiS2_bS2_
    .private_segment_fixed_size: 2628
    .sgpr_count:     36
    .sgpr_spill_count: 0
    .symbol:         _Z6kalmanILi8EEvPKdiS1_S1_S1_S1_S1_bS1_iPdS2_S2_iiS2_bS2_.kd
    .uniform_work_group_size: 1
    .uses_dynamic_stack: false
    .vgpr_count:     128
    .vgpr_spill_count: 1592
    .wavefront_size: 64
amdhsa.target:   amdgcn-amd-amdhsa--gfx942
amdhsa.version:
  - 1
  - 2
...

	.end_amdgpu_metadata
